;; amdgpu-corpus repo=ROCm/rocFFT kind=compiled arch=gfx906 opt=O3
	.text
	.amdgcn_target "amdgcn-amd-amdhsa--gfx906"
	.amdhsa_code_object_version 6
	.protected	fft_rtc_back_len3456_factors_6_6_6_4_4_wgs_144_tpt_144_halfLds_half_op_CI_CI_unitstride_sbrr_dirReg ; -- Begin function fft_rtc_back_len3456_factors_6_6_6_4_4_wgs_144_tpt_144_halfLds_half_op_CI_CI_unitstride_sbrr_dirReg
	.globl	fft_rtc_back_len3456_factors_6_6_6_4_4_wgs_144_tpt_144_halfLds_half_op_CI_CI_unitstride_sbrr_dirReg
	.p2align	8
	.type	fft_rtc_back_len3456_factors_6_6_6_4_4_wgs_144_tpt_144_halfLds_half_op_CI_CI_unitstride_sbrr_dirReg,@function
fft_rtc_back_len3456_factors_6_6_6_4_4_wgs_144_tpt_144_halfLds_half_op_CI_CI_unitstride_sbrr_dirReg: ; @fft_rtc_back_len3456_factors_6_6_6_4_4_wgs_144_tpt_144_halfLds_half_op_CI_CI_unitstride_sbrr_dirReg
; %bb.0:
	s_load_dwordx4 s[8:11], s[4:5], 0x58
	s_load_dwordx4 s[12:15], s[4:5], 0x0
	;; [unrolled: 1-line block ×3, first 2 shown]
	v_mul_u32_u24_e32 v1, 0x1c8, v0
	v_mov_b32_e32 v7, 0
	v_mov_b32_e32 v5, 0
	s_waitcnt lgkmcnt(0)
	v_cmp_lt_u64_e64 s[0:1], s[14:15], 2
	v_add_u32_sdwa v9, s6, v1 dst_sel:DWORD dst_unused:UNUSED_PAD src0_sel:DWORD src1_sel:WORD_1
	v_mov_b32_e32 v10, v7
	s_and_b64 vcc, exec, s[0:1]
	v_mov_b32_e32 v6, 0
	s_cbranch_vccnz .LBB0_8
; %bb.1:
	s_load_dwordx2 s[0:1], s[4:5], 0x10
	s_add_u32 s2, s18, 8
	s_addc_u32 s3, s19, 0
	s_add_u32 s6, s16, 8
	s_addc_u32 s7, s17, 0
	v_mov_b32_e32 v5, 0
	s_waitcnt lgkmcnt(0)
	s_add_u32 s20, s0, 8
	v_mov_b32_e32 v6, 0
	v_mov_b32_e32 v1, v5
	s_addc_u32 s21, s1, 0
	s_mov_b64 s[22:23], 1
	v_mov_b32_e32 v2, v6
.LBB0_2:                                ; =>This Inner Loop Header: Depth=1
	s_load_dwordx2 s[24:25], s[20:21], 0x0
                                        ; implicit-def: $vgpr3_vgpr4
	s_waitcnt lgkmcnt(0)
	v_or_b32_e32 v8, s25, v10
	v_cmp_ne_u64_e32 vcc, 0, v[7:8]
	s_and_saveexec_b64 s[0:1], vcc
	s_xor_b64 s[26:27], exec, s[0:1]
	s_cbranch_execz .LBB0_4
; %bb.3:                                ;   in Loop: Header=BB0_2 Depth=1
	v_cvt_f32_u32_e32 v3, s24
	v_cvt_f32_u32_e32 v4, s25
	s_sub_u32 s0, 0, s24
	s_subb_u32 s1, 0, s25
	v_mac_f32_e32 v3, 0x4f800000, v4
	v_rcp_f32_e32 v3, v3
	v_mul_f32_e32 v3, 0x5f7ffffc, v3
	v_mul_f32_e32 v4, 0x2f800000, v3
	v_trunc_f32_e32 v4, v4
	v_mac_f32_e32 v3, 0xcf800000, v4
	v_cvt_u32_f32_e32 v4, v4
	v_cvt_u32_f32_e32 v3, v3
	v_mul_lo_u32 v8, s0, v4
	v_mul_hi_u32 v11, s0, v3
	v_mul_lo_u32 v13, s1, v3
	v_mul_lo_u32 v12, s0, v3
	v_add_u32_e32 v8, v11, v8
	v_add_u32_e32 v8, v8, v13
	v_mul_hi_u32 v11, v3, v12
	v_mul_lo_u32 v13, v3, v8
	v_mul_hi_u32 v15, v3, v8
	v_mul_hi_u32 v14, v4, v12
	v_mul_lo_u32 v12, v4, v12
	v_mul_hi_u32 v16, v4, v8
	v_add_co_u32_e32 v11, vcc, v11, v13
	v_addc_co_u32_e32 v13, vcc, 0, v15, vcc
	v_mul_lo_u32 v8, v4, v8
	v_add_co_u32_e32 v11, vcc, v11, v12
	v_addc_co_u32_e32 v11, vcc, v13, v14, vcc
	v_addc_co_u32_e32 v12, vcc, 0, v16, vcc
	v_add_co_u32_e32 v8, vcc, v11, v8
	v_addc_co_u32_e32 v11, vcc, 0, v12, vcc
	v_add_co_u32_e32 v3, vcc, v3, v8
	v_addc_co_u32_e32 v4, vcc, v4, v11, vcc
	v_mul_lo_u32 v8, s0, v4
	v_mul_hi_u32 v11, s0, v3
	v_mul_lo_u32 v12, s1, v3
	v_mul_lo_u32 v13, s0, v3
	v_add_u32_e32 v8, v11, v8
	v_add_u32_e32 v8, v8, v12
	v_mul_lo_u32 v14, v3, v8
	v_mul_hi_u32 v15, v3, v13
	v_mul_hi_u32 v16, v3, v8
	v_mul_hi_u32 v12, v4, v13
	v_mul_lo_u32 v13, v4, v13
	v_mul_hi_u32 v11, v4, v8
	v_add_co_u32_e32 v14, vcc, v15, v14
	v_addc_co_u32_e32 v15, vcc, 0, v16, vcc
	v_mul_lo_u32 v8, v4, v8
	v_add_co_u32_e32 v13, vcc, v14, v13
	v_addc_co_u32_e32 v12, vcc, v15, v12, vcc
	v_addc_co_u32_e32 v11, vcc, 0, v11, vcc
	v_add_co_u32_e32 v8, vcc, v12, v8
	v_addc_co_u32_e32 v11, vcc, 0, v11, vcc
	v_add_co_u32_e32 v8, vcc, v3, v8
	v_addc_co_u32_e32 v11, vcc, v4, v11, vcc
	v_mad_u64_u32 v[3:4], s[0:1], v9, v11, 0
	v_mul_hi_u32 v12, v9, v8
	v_add_co_u32_e32 v13, vcc, v12, v3
	v_addc_co_u32_e32 v14, vcc, 0, v4, vcc
	v_mad_u64_u32 v[3:4], s[0:1], v10, v8, 0
	v_mad_u64_u32 v[11:12], s[0:1], v10, v11, 0
	v_add_co_u32_e32 v3, vcc, v13, v3
	v_addc_co_u32_e32 v3, vcc, v14, v4, vcc
	v_addc_co_u32_e32 v4, vcc, 0, v12, vcc
	v_add_co_u32_e32 v8, vcc, v3, v11
	v_addc_co_u32_e32 v11, vcc, 0, v4, vcc
	v_mul_lo_u32 v12, s25, v8
	v_mul_lo_u32 v13, s24, v11
	v_mad_u64_u32 v[3:4], s[0:1], s24, v8, 0
	v_add3_u32 v4, v4, v13, v12
	v_sub_u32_e32 v12, v10, v4
	v_mov_b32_e32 v13, s25
	v_sub_co_u32_e32 v3, vcc, v9, v3
	v_subb_co_u32_e64 v12, s[0:1], v12, v13, vcc
	v_subrev_co_u32_e64 v13, s[0:1], s24, v3
	v_subbrev_co_u32_e64 v12, s[0:1], 0, v12, s[0:1]
	v_cmp_le_u32_e64 s[0:1], s25, v12
	v_cndmask_b32_e64 v14, 0, -1, s[0:1]
	v_cmp_le_u32_e64 s[0:1], s24, v13
	v_cndmask_b32_e64 v13, 0, -1, s[0:1]
	v_cmp_eq_u32_e64 s[0:1], s25, v12
	v_cndmask_b32_e64 v12, v14, v13, s[0:1]
	v_add_co_u32_e64 v13, s[0:1], 2, v8
	v_addc_co_u32_e64 v14, s[0:1], 0, v11, s[0:1]
	v_add_co_u32_e64 v15, s[0:1], 1, v8
	v_addc_co_u32_e64 v16, s[0:1], 0, v11, s[0:1]
	v_subb_co_u32_e32 v4, vcc, v10, v4, vcc
	v_cmp_ne_u32_e64 s[0:1], 0, v12
	v_cmp_le_u32_e32 vcc, s25, v4
	v_cndmask_b32_e64 v12, v16, v14, s[0:1]
	v_cndmask_b32_e64 v14, 0, -1, vcc
	v_cmp_le_u32_e32 vcc, s24, v3
	v_cndmask_b32_e64 v3, 0, -1, vcc
	v_cmp_eq_u32_e32 vcc, s25, v4
	v_cndmask_b32_e32 v3, v14, v3, vcc
	v_cmp_ne_u32_e32 vcc, 0, v3
	v_cndmask_b32_e64 v3, v15, v13, s[0:1]
	v_cndmask_b32_e32 v4, v11, v12, vcc
	v_cndmask_b32_e32 v3, v8, v3, vcc
.LBB0_4:                                ;   in Loop: Header=BB0_2 Depth=1
	s_andn2_saveexec_b64 s[0:1], s[26:27]
	s_cbranch_execz .LBB0_6
; %bb.5:                                ;   in Loop: Header=BB0_2 Depth=1
	v_cvt_f32_u32_e32 v3, s24
	s_sub_i32 s26, 0, s24
	v_rcp_iflag_f32_e32 v3, v3
	v_mul_f32_e32 v3, 0x4f7ffffe, v3
	v_cvt_u32_f32_e32 v3, v3
	v_mul_lo_u32 v4, s26, v3
	v_mul_hi_u32 v4, v3, v4
	v_add_u32_e32 v3, v3, v4
	v_mul_hi_u32 v3, v9, v3
	v_mul_lo_u32 v4, v3, s24
	v_add_u32_e32 v8, 1, v3
	v_sub_u32_e32 v4, v9, v4
	v_subrev_u32_e32 v11, s24, v4
	v_cmp_le_u32_e32 vcc, s24, v4
	v_cndmask_b32_e32 v4, v4, v11, vcc
	v_cndmask_b32_e32 v3, v3, v8, vcc
	v_add_u32_e32 v8, 1, v3
	v_cmp_le_u32_e32 vcc, s24, v4
	v_cndmask_b32_e32 v3, v3, v8, vcc
	v_mov_b32_e32 v4, v7
.LBB0_6:                                ;   in Loop: Header=BB0_2 Depth=1
	s_or_b64 exec, exec, s[0:1]
	v_mul_lo_u32 v8, v4, s24
	v_mul_lo_u32 v13, v3, s25
	v_mad_u64_u32 v[11:12], s[0:1], v3, s24, 0
	s_load_dwordx2 s[0:1], s[6:7], 0x0
	s_load_dwordx2 s[24:25], s[2:3], 0x0
	v_add3_u32 v8, v12, v13, v8
	v_sub_co_u32_e32 v9, vcc, v9, v11
	v_subb_co_u32_e32 v8, vcc, v10, v8, vcc
	s_waitcnt lgkmcnt(0)
	v_mul_lo_u32 v10, s0, v8
	v_mul_lo_u32 v11, s1, v9
	v_mad_u64_u32 v[5:6], s[0:1], s0, v9, v[5:6]
	v_mul_lo_u32 v8, s24, v8
	v_mul_lo_u32 v12, s25, v9
	v_mad_u64_u32 v[1:2], s[0:1], s24, v9, v[1:2]
	s_add_u32 s22, s22, 1
	s_addc_u32 s23, s23, 0
	s_add_u32 s2, s2, 8
	v_add3_u32 v2, v12, v2, v8
	s_addc_u32 s3, s3, 0
	v_mov_b32_e32 v8, s14
	s_add_u32 s6, s6, 8
	v_mov_b32_e32 v9, s15
	s_addc_u32 s7, s7, 0
	v_cmp_ge_u64_e32 vcc, s[22:23], v[8:9]
	s_add_u32 s20, s20, 8
	v_add3_u32 v6, v11, v6, v10
	s_addc_u32 s21, s21, 0
	s_cbranch_vccnz .LBB0_9
; %bb.7:                                ;   in Loop: Header=BB0_2 Depth=1
	v_mov_b32_e32 v10, v4
	v_mov_b32_e32 v9, v3
	s_branch .LBB0_2
.LBB0_8:
	v_mov_b32_e32 v1, v5
	v_mov_b32_e32 v3, v9
	;; [unrolled: 1-line block ×4, first 2 shown]
.LBB0_9:
	s_load_dwordx2 s[0:1], s[4:5], 0x28
	s_lshl_b64 s[6:7], s[14:15], 3
	s_add_u32 s2, s18, s6
	s_addc_u32 s3, s19, s7
                                        ; implicit-def: $vgpr7
	s_waitcnt lgkmcnt(0)
	v_cmp_gt_u64_e32 vcc, s[0:1], v[3:4]
	v_cmp_le_u64_e64 s[0:1], s[0:1], v[3:4]
	s_and_saveexec_b64 s[4:5], s[0:1]
	s_xor_b64 s[0:1], exec, s[4:5]
; %bb.10:
	s_mov_b32 s4, 0x1c71c72
	v_mul_hi_u32 v5, v0, s4
	v_mul_u32_u24_e32 v5, 0x90, v5
	v_sub_u32_e32 v7, v0, v5
                                        ; implicit-def: $vgpr0
                                        ; implicit-def: $vgpr5_vgpr6
; %bb.11:
	s_or_saveexec_b64 s[4:5], s[0:1]
                                        ; implicit-def: $vgpr51
                                        ; implicit-def: $vgpr40
                                        ; implicit-def: $vgpr50
                                        ; implicit-def: $vgpr37
                                        ; implicit-def: $vgpr55
                                        ; implicit-def: $vgpr47
                                        ; implicit-def: $vgpr52
                                        ; implicit-def: $vgpr25
                                        ; implicit-def: $vgpr54
                                        ; implicit-def: $vgpr30
                                        ; implicit-def: $vgpr53
                                        ; implicit-def: $vgpr33
                                        ; implicit-def: $vgpr44
                                        ; implicit-def: $vgpr27
                                        ; implicit-def: $vgpr43
                                        ; implicit-def: $vgpr22
                                        ; implicit-def: $vgpr48
                                        ; implicit-def: $vgpr38
                                        ; implicit-def: $vgpr45
                                        ; implicit-def: $vgpr16
                                        ; implicit-def: $vgpr49
                                        ; implicit-def: $vgpr41
                                        ; implicit-def: $vgpr46
                                        ; implicit-def: $vgpr20
                                        ; implicit-def: $vgpr34
                                        ; implicit-def: $vgpr11
                                        ; implicit-def: $vgpr32
                                        ; implicit-def: $vgpr10
                                        ; implicit-def: $vgpr39
                                        ; implicit-def: $vgpr23
                                        ; implicit-def: $vgpr35
                                        ; implicit-def: $vgpr19
                                        ; implicit-def: $vgpr42
                                        ; implicit-def: $vgpr29
                                        ; implicit-def: $vgpr36
                                        ; implicit-def: $vgpr26
                                        ; implicit-def: $vgpr18
                                        ; implicit-def: $vgpr9
                                        ; implicit-def: $vgpr15
                                        ; implicit-def: $vgpr8
                                        ; implicit-def: $vgpr28
                                        ; implicit-def: $vgpr12
                                        ; implicit-def: $vgpr21
                                        ; implicit-def: $vgpr13
                                        ; implicit-def: $vgpr31
                                        ; implicit-def: $vgpr17
                                        ; implicit-def: $vgpr24
                                        ; implicit-def: $vgpr14
	s_xor_b64 exec, exec, s[4:5]
	s_cbranch_execz .LBB0_13
; %bb.12:
	s_add_u32 s0, s16, s6
	s_addc_u32 s1, s17, s7
	s_load_dwordx2 s[0:1], s[0:1], 0x0
	s_mov_b32 s6, 0x1c71c72
	v_mul_hi_u32 v7, v0, s6
	v_lshlrev_b64 v[5:6], 2, v[5:6]
	s_waitcnt lgkmcnt(0)
	v_mul_lo_u32 v10, s1, v3
	v_mul_lo_u32 v11, s0, v4
	v_mad_u64_u32 v[8:9], s[0:1], s0, v3, 0
	v_mul_u32_u24_e32 v7, 0x90, v7
	v_sub_u32_e32 v7, v0, v7
	v_add3_u32 v9, v9, v11, v10
	v_lshlrev_b64 v[8:9], 2, v[8:9]
	v_mov_b32_e32 v0, s9
	v_add_co_u32_e64 v8, s[0:1], s8, v8
	v_addc_co_u32_e64 v0, s[0:1], v0, v9, s[0:1]
	v_add_co_u32_e64 v8, s[0:1], v8, v5
	v_addc_co_u32_e64 v0, s[0:1], v0, v6, s[0:1]
	v_lshlrev_b32_e32 v9, 2, v7
	v_add_co_u32_e64 v5, s[0:1], v8, v9
	v_addc_co_u32_e64 v6, s[0:1], 0, v0, s[0:1]
	s_movk_i32 s0, 0x1000
	v_add_co_u32_e64 v31, s[0:1], s0, v5
	v_addc_co_u32_e64 v32, s[0:1], 0, v6, s[0:1]
	v_or_b32_e32 v9, 0x2400, v9
	v_add_co_u32_e64 v8, s[0:1], v8, v9
	v_addc_co_u32_e64 v9, s[0:1], 0, v0, s[0:1]
	s_movk_i32 s0, 0x2000
	v_add_co_u32_e64 v34, s[0:1], s0, v5
	v_addc_co_u32_e64 v35, s[0:1], 0, v6, s[0:1]
	s_movk_i32 s0, 0x3000
	global_load_dword v30, v[8:9], off
	global_load_dword v25, v[31:32], off offset:2816
	global_load_dword v16, v[31:32], off offset:3392
	;; [unrolled: 1-line block ×4, first 2 shown]
	global_load_dword v40, v[5:6], off
	global_load_dword v27, v[5:6], off offset:576
	global_load_dword v11, v[5:6], off offset:1152
	;; [unrolled: 1-line block ×13, first 2 shown]
	v_add_co_u32_e64 v5, s[0:1], s0, v5
	v_addc_co_u32_e64 v6, s[0:1], 0, v6, s[0:1]
	global_load_dword v12, v[31:32], off offset:2240
	global_load_dword v26, v[5:6], off offset:384
	;; [unrolled: 1-line block ×5, first 2 shown]
	s_waitcnt vmcnt(22)
	v_lshrrev_b32_e32 v52, 16, v25
	s_waitcnt vmcnt(21)
	v_lshrrev_b32_e32 v45, 16, v16
	;; [unrolled: 2-line block ×16, first 2 shown]
	v_lshrrev_b32_e32 v54, 16, v30
	s_waitcnt vmcnt(6)
	v_lshrrev_b32_e32 v49, 16, v41
	s_waitcnt vmcnt(5)
	;; [unrolled: 2-line block ×3, first 2 shown]
	v_lshrrev_b32_e32 v36, 16, v26
	v_lshrrev_b32_e32 v28, 16, v12
	s_waitcnt vmcnt(1)
	v_lshrrev_b32_e32 v31, 16, v17
	s_waitcnt vmcnt(0)
	v_lshrrev_b32_e32 v21, 16, v13
	v_lshrrev_b32_e32 v24, 16, v14
.LBB0_13:
	s_or_b64 exec, exec, s[4:5]
	v_add_f16_e32 v5, v47, v30
	v_fma_f16 v5, v5, -0.5, v40
	v_sub_f16_e32 v6, v55, v54
	s_mov_b32 s1, 0xbaee
	s_movk_i32 s0, 0x3aee
	v_add_f16_e32 v0, v40, v47
	v_fma_f16 v40, v6, s1, v5
	v_fma_f16 v5, v6, s0, v5
	v_add_f16_e32 v6, v51, v55
	v_add_f16_e32 v6, v6, v54
	;; [unrolled: 1-line block ×4, first 2 shown]
	v_fma_f16 v51, v54, -0.5, v51
	v_sub_f16_e32 v30, v47, v30
	v_add_f16_e32 v54, v25, v33
	v_fma_f16 v47, v30, s0, v51
	v_fma_f16 v30, v30, s1, v51
	v_add_f16_e32 v51, v37, v25
	v_fma_f16 v37, v54, -0.5, v37
	v_sub_f16_e32 v54, v52, v53
	v_fma_f16 v55, v54, s1, v37
	v_fma_f16 v37, v54, s0, v37
	v_add_f16_e32 v54, v50, v52
	v_add_f16_e32 v52, v52, v53
	v_fma_f16 v50, v52, -0.5, v50
	v_sub_f16_e32 v25, v25, v33
	v_add_f16_e32 v51, v51, v33
	v_fma_f16 v33, v25, s0, v50
	v_mul_f16_e32 v52, 0xbaee, v33
	v_fma_f16 v25, v25, s1, v50
	v_fma_f16 v52, v55, 0.5, v52
	v_mul_f16_e32 v55, 0x3aee, v55
	v_mul_f16_e32 v56, 0xbaee, v25
	v_fma_f16 v33, v33, 0.5, v55
	v_mul_f16_e32 v25, -0.5, v25
	v_add_f16_e32 v55, v47, v33
	v_fma_f16 v25, v37, s0, v25
	v_sub_f16_e32 v33, v47, v33
	v_add_f16_e32 v47, v38, v41
	v_fma_f16 v56, v37, -0.5, v56
	v_add_f16_e32 v37, v30, v25
	v_sub_f16_e32 v25, v30, v25
	v_add_f16_e32 v30, v27, v38
	v_fma_f16 v27, v47, -0.5, v27
	v_sub_f16_e32 v47, v48, v49
	v_add_f16_e32 v50, v0, v51
	v_sub_f16_e32 v0, v0, v51
	v_fma_f16 v51, v47, s1, v27
	v_fma_f16 v27, v47, s0, v27
	v_add_f16_e32 v47, v44, v48
	v_add_f16_e32 v48, v48, v49
	v_fma_f16 v44, v48, -0.5, v44
	v_sub_f16_e32 v38, v38, v41
	v_add_f16_e32 v48, v16, v20
	v_add_f16_e32 v30, v30, v41
	v_fma_f16 v41, v38, s0, v44
	v_fma_f16 v38, v38, s1, v44
	v_add_f16_e32 v44, v22, v16
	v_fma_f16 v22, v48, -0.5, v22
	v_sub_f16_e32 v48, v45, v46
	v_add_f16_e32 v47, v47, v49
	v_fma_f16 v49, v48, s1, v22
	v_fma_f16 v22, v48, s0, v22
	v_add_f16_e32 v48, v43, v45
	v_add_f16_e32 v45, v45, v46
	v_fma_f16 v43, v45, -0.5, v43
	v_sub_f16_e32 v16, v16, v20
	v_add_f16_e32 v44, v44, v20
	v_fma_f16 v20, v16, s0, v43
	v_mul_f16_e32 v45, 0xbaee, v20
	v_fma_f16 v16, v16, s1, v43
	v_fma_f16 v45, v49, 0.5, v45
	v_mul_f16_e32 v49, 0x3aee, v49
	v_add_f16_e32 v54, v54, v53
	v_add_f16_e32 v53, v40, v52
	v_sub_f16_e32 v40, v40, v52
	v_mul_f16_e32 v52, 0xbaee, v16
	v_fma_f16 v20, v20, 0.5, v49
	v_mul_f16_e32 v16, -0.5, v16
	v_add_f16_e32 v49, v41, v20
	v_fma_f16 v16, v22, s0, v16
	v_sub_f16_e32 v20, v41, v20
	v_add_f16_e32 v41, v23, v29
	v_add_f16_e32 v48, v48, v46
	v_fma_f16 v52, v22, -0.5, v52
	v_add_f16_e32 v22, v38, v16
	v_sub_f16_e32 v16, v38, v16
	v_add_f16_e32 v38, v11, v23
	v_fma_f16 v11, v41, -0.5, v11
	v_sub_f16_e32 v41, v39, v42
	v_add_f16_e32 v57, v5, v56
	v_sub_f16_e32 v5, v5, v56
	v_add_f16_e32 v43, v30, v44
	v_add_f16_e32 v46, v51, v45
	v_add_f16_e32 v56, v47, v48
	v_sub_f16_e32 v30, v30, v44
	v_sub_f16_e32 v44, v51, v45
	;; [unrolled: 1-line block ×3, first 2 shown]
	v_fma_f16 v47, v41, s1, v11
	v_fma_f16 v11, v41, s0, v11
	v_add_f16_e32 v41, v34, v39
	v_add_f16_e32 v39, v39, v42
	v_fma_f16 v34, v39, -0.5, v34
	v_sub_f16_e32 v23, v23, v29
	v_add_f16_e32 v39, v19, v26
	v_add_f16_e32 v38, v38, v29
	v_fma_f16 v29, v23, s0, v34
	v_fma_f16 v23, v23, s1, v34
	v_add_f16_e32 v34, v10, v19
	v_fma_f16 v10, v39, -0.5, v10
	v_sub_f16_e32 v39, v35, v36
	v_add_f16_e32 v41, v41, v42
	v_fma_f16 v42, v39, s1, v10
	v_fma_f16 v10, v39, s0, v10
	v_add_f16_e32 v39, v32, v35
	v_add_f16_e32 v35, v35, v36
	v_fma_f16 v32, v35, -0.5, v32
	v_sub_f16_e32 v19, v19, v26
	v_add_f16_e32 v34, v34, v26
	v_fma_f16 v26, v19, s0, v32
	v_mul_f16_e32 v35, 0xbaee, v26
	v_fma_f16 v19, v19, s1, v32
	v_fma_f16 v35, v42, 0.5, v35
	v_mul_f16_e32 v42, 0x3aee, v42
	v_mul_f16_e32 v48, 0xbaee, v19
	v_fma_f16 v26, v26, 0.5, v42
	v_mul_f16_e32 v19, -0.5, v19
	v_fma_f16 v48, v10, -0.5, v48
	v_add_f16_e32 v42, v29, v26
	v_fma_f16 v10, v10, s0, v19
	v_sub_f16_e32 v26, v29, v26
	v_add_f16_e32 v29, v12, v17
	v_add_f16_e32 v39, v39, v36
	;; [unrolled: 1-line block ×3, first 2 shown]
	v_sub_f16_e32 v10, v23, v10
	v_add_f16_e32 v23, v9, v12
	v_fma_f16 v9, v29, -0.5, v9
	v_sub_f16_e32 v29, v28, v31
	v_add_f16_e32 v58, v6, v54
	v_sub_f16_e32 v6, v6, v54
	v_add_f16_e32 v54, v27, v52
	;; [unrolled: 2-line block ×3, first 2 shown]
	v_add_f16_e32 v52, v41, v39
	v_sub_f16_e32 v34, v38, v34
	v_sub_f16_e32 v38, v41, v39
	v_fma_f16 v39, v29, s1, v9
	v_fma_f16 v9, v29, s0, v9
	v_add_f16_e32 v29, v18, v28
	v_add_f16_e32 v28, v28, v31
	v_fma_f16 v18, v28, -0.5, v18
	v_sub_f16_e32 v12, v12, v17
	v_add_f16_e32 v28, v13, v14
	v_add_f16_e32 v23, v23, v17
	v_fma_f16 v17, v12, s0, v18
	v_fma_f16 v12, v12, s1, v18
	v_add_f16_e32 v18, v8, v13
	v_fma_f16 v8, v28, -0.5, v8
	v_sub_f16_e32 v28, v21, v24
	v_add_f16_e32 v29, v29, v31
	v_fma_f16 v31, v28, s1, v8
	v_fma_f16 v8, v28, s0, v8
	v_add_f16_e32 v28, v15, v21
	v_add_f16_e32 v21, v21, v24
	v_fma_f16 v15, v21, -0.5, v15
	v_sub_f16_e32 v13, v13, v14
	v_add_f16_e32 v18, v18, v14
	v_fma_f16 v14, v13, s0, v15
	v_fma_f16 v13, v13, s1, v15
	v_mul_f16_e32 v21, 0xbaee, v14
	v_mul_f16_e32 v41, 0xbaee, v13
	v_mul_f16_e32 v13, -0.5, v13
	v_fma_f16 v21, v31, 0.5, v21
	v_fma_f16 v41, v8, -0.5, v41
	v_mul_f16_e32 v31, 0x3aee, v31
	v_fma_f16 v8, v8, s0, v13
	v_fma_f16 v14, v14, 0.5, v31
	v_add_f16_e32 v13, v12, v8
	v_sub_f16_e32 v8, v12, v8
	v_mul_u32_u24_e32 v12, 6, v7
	v_add_f16_e32 v31, v17, v14
	v_sub_f16_e32 v14, v17, v14
	v_lshl_add_u32 v17, v12, 1, 0
	v_pack_b32_f16 v0, v57, v0
	v_pack_b32_f16 v12, v50, v53
	ds_write2_b32 v17, v12, v0 offset1:1
	v_pack_b32_f16 v0, v40, v5
	ds_write_b32 v17, v0 offset:8
	v_add_u32_e32 v5, 0x6c0, v17
	v_pack_b32_f16 v0, v54, v30
	v_pack_b32_f16 v12, v43, v46
	v_add_f16_e32 v36, v47, v35
	v_add_f16_e32 v51, v11, v48
	ds_write2_b32 v5, v12, v0 offset1:1
	v_pack_b32_f16 v0, v44, v27
	v_sub_f16_e32 v35, v47, v35
	v_sub_f16_e32 v11, v11, v48
	ds_write_b32 v17, v0 offset:1736
	v_add_u32_e32 v27, 0xd80, v17
	v_pack_b32_f16 v0, v51, v34
	v_pack_b32_f16 v12, v32, v36
	v_add_f16_e32 v28, v28, v24
	v_add_f16_e32 v15, v23, v18
	;; [unrolled: 1-line block ×4, first 2 shown]
	v_sub_f16_e32 v18, v23, v18
	ds_write2_b32 v27, v12, v0 offset1:1
	v_pack_b32_f16 v0, v35, v11
	v_sub_f16_e32 v21, v39, v21
	v_sub_f16_e32 v9, v9, v41
	ds_write_b32 v17, v0 offset:3464
	v_add_u32_e32 v11, 0x1440, v17
	v_pack_b32_f16 v0, v47, v18
	v_pack_b32_f16 v12, v15, v24
	ds_write2_b32 v11, v12, v0 offset1:1
	v_pack_b32_f16 v0, v21, v9
	ds_write_b32 v17, v0 offset:5192
	v_mad_i32_i24 v0, v7, -10, v17
	v_pack_b32_f16 v6, v37, v6
	v_pack_b32_f16 v9, v58, v55
	s_load_dwordx2 s[2:3], s[2:3], 0x0
	s_waitcnt lgkmcnt(0)
	s_barrier
	ds_read_u16 v39, v0
	ds_read_u16 v18, v0 offset:288
	ds_read_u16 v15, v0 offset:576
	;; [unrolled: 1-line block ×23, first 2 shown]
	s_waitcnt lgkmcnt(0)
	s_barrier
	ds_write2_b32 v17, v9, v6 offset1:1
	v_pack_b32_f16 v6, v33, v25
	ds_write_b32 v17, v6 offset:8
	v_pack_b32_f16 v6, v22, v45
	v_pack_b32_f16 v9, v56, v49
	ds_write2_b32 v5, v9, v6 offset1:1
	v_pack_b32_f16 v5, v20, v16
	ds_write_b32 v17, v5 offset:1736
	v_pack_b32_f16 v5, v19, v38
	v_pack_b32_f16 v6, v52, v42
	v_add_f16_e32 v48, v29, v28
	v_sub_f16_e32 v23, v29, v28
	ds_write2_b32 v27, v6, v5 offset1:1
	v_pack_b32_f16 v5, v26, v10
	ds_write_b32 v17, v5 offset:3464
	v_pack_b32_f16 v5, v13, v23
	v_pack_b32_f16 v6, v48, v31
	ds_write2_b32 v11, v6, v5 offset1:1
	v_pack_b32_f16 v5, v14, v8
	s_movk_i32 s4, 0xab
	ds_write_b32 v17, v5 offset:5192
	v_mul_lo_u16_sdwa v5, v7, s4 dst_sel:DWORD dst_unused:UNUSED_PAD src0_sel:BYTE_0 src1_sel:DWORD
	v_lshrrev_b16_e32 v10, 10, v5
	v_mul_lo_u16_e32 v5, 6, v10
	v_sub_u16_e32 v11, v7, v5
	v_mov_b32_e32 v9, 5
	v_mul_u32_u24_sdwa v5, v11, v9 dst_sel:DWORD dst_unused:UNUSED_PAD src0_sel:BYTE_0 src1_sel:DWORD
	v_lshlrev_b32_e32 v37, 2, v5
	v_add_u32_e32 v5, 0x90, v7
	s_mov_b32 s4, 0xaaab
	v_mul_u32_u24_sdwa v6, v5, s4 dst_sel:DWORD dst_unused:UNUSED_PAD src0_sel:WORD_0 src1_sel:DWORD
	v_lshrrev_b32_e32 v13, 18, v6
	s_waitcnt lgkmcnt(0)
	s_barrier
	global_load_dwordx4 v[21:24], v37, s[12:13]
	v_mul_lo_u16_e32 v6, 6, v13
	v_sub_u16_e32 v14, v5, v6
	v_mul_u32_u24_e32 v6, 5, v14
	v_lshlrev_b32_e32 v38, 2, v6
	global_load_dwordx4 v[25:28], v38, s[12:13]
	v_add_u32_e32 v6, 0x120, v7
	v_mul_u32_u24_sdwa v8, v6, s4 dst_sel:DWORD dst_unused:UNUSED_PAD src0_sel:WORD_0 src1_sel:DWORD
	v_lshrrev_b32_e32 v16, 18, v8
	v_mul_lo_u16_e32 v8, 6, v16
	v_sub_u16_e32 v17, v6, v8
	v_mul_u32_u24_e32 v8, 5, v17
	v_lshlrev_b32_e32 v42, 2, v8
	global_load_dwordx4 v[29:32], v42, s[12:13]
	v_add_u32_e32 v8, 0x1b0, v7
	v_mul_u32_u24_sdwa v19, v8, s4 dst_sel:DWORD dst_unused:UNUSED_PAD src0_sel:WORD_0 src1_sel:DWORD
	v_lshrrev_b32_e32 v19, 18, v19
	v_mul_lo_u16_e32 v20, 6, v19
	v_sub_u16_e32 v20, v8, v20
	v_mul_u32_u24_e32 v33, 5, v20
	v_lshlrev_b32_e32 v45, 2, v33
	global_load_dwordx4 v[33:36], v45, s[12:13]
	global_load_dword v48, v42, s[12:13] offset:16
	global_load_dword v49, v45, s[12:13] offset:16
	ds_read_u16 v42, v0 offset:2304
	ds_read_u16 v45, v0 offset:2592
	ds_read_u16 v52, v0 offset:2880
	ds_read_u16 v55, v0 offset:1728
	ds_read_u16 v56, v0 offset:2016
	global_load_dword v37, v37, s[12:13] offset:16
	ds_read_u16 v58, v0 offset:1440
	ds_read_u16 v68, v0 offset:1152
	ds_read_u16 v69, v0 offset:864
	ds_read_u16 v70, v0 offset:4032
	ds_read_u16 v71, v0 offset:4320
	;; [unrolled: 6-line block ×3, first 2 shown]
	ds_read_u16 v77, v0 offset:4608
	ds_read_u16 v78, v0 offset:4896
	;; [unrolled: 1-line block ×4, first 2 shown]
	s_mov_b32 s4, 0xe38f
	s_waitcnt vmcnt(7) lgkmcnt(12)
	v_mul_f16_sdwa v81, v68, v21 dst_sel:DWORD dst_unused:UNUSED_PAD src0_sel:DWORD src1_sel:WORD_1
	v_fma_f16 v81, v54, v21, v81
	v_mul_f16_sdwa v54, v54, v21 dst_sel:DWORD dst_unused:UNUSED_PAD src0_sel:DWORD src1_sel:WORD_1
	v_fma_f16 v21, v68, v21, -v54
	s_waitcnt lgkmcnt(3)
	v_mul_f16_sdwa v68, v77, v24 dst_sel:DWORD dst_unused:UNUSED_PAD src0_sel:DWORD src1_sel:WORD_1
	v_fma_f16 v68, v44, v24, v68
	v_mul_f16_sdwa v44, v44, v24 dst_sel:DWORD dst_unused:UNUSED_PAD src0_sel:DWORD src1_sel:WORD_1
	v_fma_f16 v24, v77, v24, -v44
	s_waitcnt vmcnt(6)
	v_mul_f16_sdwa v44, v58, v25 dst_sel:DWORD dst_unused:UNUSED_PAD src0_sel:DWORD src1_sel:WORD_1
	v_fma_f16 v44, v53, v25, v44
	v_mul_f16_sdwa v53, v53, v25 dst_sel:DWORD dst_unused:UNUSED_PAD src0_sel:DWORD src1_sel:WORD_1
	v_fma_f16 v25, v58, v25, -v53
	v_mul_f16_sdwa v53, v45, v26 dst_sel:DWORD dst_unused:UNUSED_PAD src0_sel:DWORD src1_sel:WORD_1
	v_fma_f16 v53, v41, v26, v53
	v_mul_f16_sdwa v41, v41, v26 dst_sel:DWORD dst_unused:UNUSED_PAD src0_sel:DWORD src1_sel:WORD_1
	v_fma_f16 v26, v45, v26, -v41
	v_mul_f16_sdwa v41, v72, v27 dst_sel:DWORD dst_unused:UNUSED_PAD src0_sel:DWORD src1_sel:WORD_1
	v_mul_f16_sdwa v45, v60, v27 dst_sel:DWORD dst_unused:UNUSED_PAD src0_sel:DWORD src1_sel:WORD_1
	v_fma_f16 v41, v60, v27, v41
	v_fma_f16 v27, v72, v27, -v45
	s_waitcnt lgkmcnt(2)
	v_mul_f16_sdwa v45, v78, v28 dst_sel:DWORD dst_unused:UNUSED_PAD src0_sel:DWORD src1_sel:WORD_1
	v_fma_f16 v45, v46, v28, v45
	v_mul_f16_sdwa v46, v46, v28 dst_sel:DWORD dst_unused:UNUSED_PAD src0_sel:DWORD src1_sel:WORD_1
	v_fma_f16 v28, v78, v28, -v46
	s_waitcnt vmcnt(5)
	v_mul_f16_sdwa v46, v55, v29 dst_sel:DWORD dst_unused:UNUSED_PAD src0_sel:DWORD src1_sel:WORD_1
	v_fma_f16 v46, v50, v29, v46
	v_mul_f16_sdwa v50, v50, v29 dst_sel:DWORD dst_unused:UNUSED_PAD src0_sel:DWORD src1_sel:WORD_1
	v_fma_f16 v29, v55, v29, -v50
	v_mul_f16_sdwa v50, v52, v30 dst_sel:DWORD dst_unused:UNUSED_PAD src0_sel:DWORD src1_sel:WORD_1
	v_fma_f16 v50, v43, v30, v50
	v_mul_f16_sdwa v43, v43, v30 dst_sel:DWORD dst_unused:UNUSED_PAD src0_sel:DWORD src1_sel:WORD_1
	v_mul_f16_sdwa v54, v42, v22 dst_sel:DWORD dst_unused:UNUSED_PAD src0_sel:DWORD src1_sel:WORD_1
	v_fma_f16 v30, v52, v30, -v43
	v_mul_f16_sdwa v43, v70, v31 dst_sel:DWORD dst_unused:UNUSED_PAD src0_sel:DWORD src1_sel:WORD_1
	v_mul_f16_sdwa v52, v57, v31 dst_sel:DWORD dst_unused:UNUSED_PAD src0_sel:DWORD src1_sel:WORD_1
	v_fma_f16 v54, v40, v22, v54
	v_mul_f16_sdwa v40, v40, v22 dst_sel:DWORD dst_unused:UNUSED_PAD src0_sel:DWORD src1_sel:WORD_1
	v_fma_f16 v43, v57, v31, v43
	v_fma_f16 v31, v70, v31, -v52
	s_waitcnt lgkmcnt(1)
	v_mul_f16_sdwa v52, v79, v32 dst_sel:DWORD dst_unused:UNUSED_PAD src0_sel:DWORD src1_sel:WORD_1
	v_fma_f16 v22, v42, v22, -v40
	v_mul_f16_sdwa v40, v73, v23 dst_sel:DWORD dst_unused:UNUSED_PAD src0_sel:DWORD src1_sel:WORD_1
	v_mul_f16_sdwa v42, v61, v23 dst_sel:DWORD dst_unused:UNUSED_PAD src0_sel:DWORD src1_sel:WORD_1
	v_fma_f16 v52, v47, v32, v52
	v_mul_f16_sdwa v47, v47, v32 dst_sel:DWORD dst_unused:UNUSED_PAD src0_sel:DWORD src1_sel:WORD_1
	v_fma_f16 v40, v61, v23, v40
	v_fma_f16 v23, v73, v23, -v42
	ds_read_u16 v42, v0 offset:6048
	ds_read_u16 v61, v0 offset:5760
	v_fma_f16 v32, v79, v32, -v47
	s_waitcnt vmcnt(4)
	v_mul_f16_sdwa v47, v56, v33 dst_sel:DWORD dst_unused:UNUSED_PAD src0_sel:DWORD src1_sel:WORD_1
	v_fma_f16 v47, v51, v33, v47
	v_mul_f16_sdwa v51, v51, v33 dst_sel:DWORD dst_unused:UNUSED_PAD src0_sel:DWORD src1_sel:WORD_1
	v_fma_f16 v33, v56, v33, -v51
	v_mul_f16_sdwa v51, v74, v34 dst_sel:DWORD dst_unused:UNUSED_PAD src0_sel:DWORD src1_sel:WORD_1
	v_mul_f16_sdwa v55, v62, v34 dst_sel:DWORD dst_unused:UNUSED_PAD src0_sel:DWORD src1_sel:WORD_1
	v_fma_f16 v51, v62, v34, v51
	v_fma_f16 v34, v74, v34, -v55
	v_mul_f16_sdwa v55, v71, v35 dst_sel:DWORD dst_unused:UNUSED_PAD src0_sel:DWORD src1_sel:WORD_1
	v_mul_f16_sdwa v56, v59, v35 dst_sel:DWORD dst_unused:UNUSED_PAD src0_sel:DWORD src1_sel:WORD_1
	v_fma_f16 v55, v59, v35, v55
	v_fma_f16 v35, v71, v35, -v56
	s_waitcnt lgkmcnt(2)
	v_mul_f16_sdwa v56, v80, v36 dst_sel:DWORD dst_unused:UNUSED_PAD src0_sel:DWORD src1_sel:WORD_1
	v_mul_f16_sdwa v57, v67, v36 dst_sel:DWORD dst_unused:UNUSED_PAD src0_sel:DWORD src1_sel:WORD_1
	ds_read_u16 v62, v0
	v_fma_f16 v56, v67, v36, v56
	v_fma_f16 v36, v80, v36, -v57
	s_waitcnt vmcnt(1) lgkmcnt(1)
	v_mul_f16_sdwa v57, v61, v37 dst_sel:DWORD dst_unused:UNUSED_PAD src0_sel:DWORD src1_sel:WORD_1
	v_mul_f16_sdwa v58, v66, v37 dst_sel:DWORD dst_unused:UNUSED_PAD src0_sel:DWORD src1_sel:WORD_1
	v_fma_f16 v57, v66, v37, v57
	v_fma_f16 v37, v61, v37, -v58
	s_waitcnt vmcnt(0)
	v_mul_f16_sdwa v58, v42, v38 dst_sel:DWORD dst_unused:UNUSED_PAD src0_sel:DWORD src1_sel:WORD_1
	v_mul_f16_sdwa v59, v65, v38 dst_sel:DWORD dst_unused:UNUSED_PAD src0_sel:DWORD src1_sel:WORD_1
	v_fma_f16 v58, v65, v38, v58
	v_fma_f16 v38, v42, v38, -v59
	v_mul_f16_sdwa v42, v75, v48 dst_sel:DWORD dst_unused:UNUSED_PAD src0_sel:DWORD src1_sel:WORD_1
	v_mul_f16_sdwa v59, v63, v48 dst_sel:DWORD dst_unused:UNUSED_PAD src0_sel:DWORD src1_sel:WORD_1
	v_fma_f16 v42, v63, v48, v42
	v_fma_f16 v48, v75, v48, -v59
	;; [unrolled: 4-line block ×3, first 2 shown]
	v_add_f16_e32 v60, v54, v68
	v_sub_f16_e32 v61, v22, v24
	s_waitcnt lgkmcnt(0)
	v_add_f16_e32 v65, v62, v22
	v_add_f16_e32 v22, v22, v24
	v_fma_f16 v60, v60, -0.5, v39
	v_add_f16_e32 v65, v65, v24
	v_fma_f16 v22, v22, -0.5, v62
	v_add_f16_e32 v24, v39, v54
	v_sub_f16_e32 v39, v54, v68
	v_fma_f16 v54, v39, s0, v22
	v_fma_f16 v22, v39, s1, v22
	v_add_f16_e32 v39, v40, v57
	v_fma_f16 v39, v39, -0.5, v81
	v_sub_f16_e32 v62, v23, v37
	v_fma_f16 v66, v62, s1, v39
	v_fma_f16 v39, v62, s0, v39
	v_add_f16_e32 v62, v21, v23
	v_add_f16_e32 v23, v23, v37
	;; [unrolled: 1-line block ×3, first 2 shown]
	v_fma_f16 v21, v23, -0.5, v21
	v_sub_f16_e32 v37, v40, v57
	v_add_f16_e32 v23, v81, v40
	v_fma_f16 v40, v37, s0, v21
	v_fma_f16 v21, v37, s1, v21
	;; [unrolled: 1-line block ×4, first 2 shown]
	ds_read_u16 v61, v0 offset:288
	ds_read_u16 v64, v0 offset:576
	v_add_f16_e32 v23, v23, v57
	v_mul_f16_e32 v37, 0xbaee, v40
	v_mul_f16_e32 v40, 0.5, v40
	v_mul_f16_e32 v57, 0xbaee, v21
	v_mul_f16_e32 v21, -0.5, v21
	v_add_f16_e32 v24, v24, v68
	v_fma_f16 v37, v66, 0.5, v37
	v_fma_f16 v40, v66, s0, v40
	v_fma_f16 v57, v39, -0.5, v57
	v_fma_f16 v21, v39, s0, v21
	v_add_f16_e32 v39, v24, v23
	v_sub_f16_e32 v23, v24, v23
	v_add_f16_e32 v24, v63, v37
	v_sub_f16_e32 v37, v63, v37
	;; [unrolled: 2-line block ×6, first 2 shown]
	v_add_f16_e32 v22, v53, v45
	v_fma_f16 v22, v22, -0.5, v18
	v_sub_f16_e32 v66, v26, v28
	v_fma_f16 v67, v66, s1, v22
	v_fma_f16 v22, v66, s0, v22
	s_waitcnt lgkmcnt(1)
	v_add_f16_e32 v66, v61, v26
	v_add_f16_e32 v26, v26, v28
	;; [unrolled: 1-line block ×3, first 2 shown]
	v_fma_f16 v26, v26, -0.5, v61
	v_add_f16_e32 v18, v18, v53
	v_sub_f16_e32 v28, v53, v45
	v_add_f16_e32 v18, v18, v45
	v_fma_f16 v45, v28, s0, v26
	v_fma_f16 v26, v28, s1, v26
	v_add_f16_e32 v28, v41, v58
	v_fma_f16 v28, v28, -0.5, v44
	v_sub_f16_e32 v53, v27, v38
	v_fma_f16 v61, v53, s1, v28
	v_fma_f16 v28, v53, s0, v28
	v_add_f16_e32 v53, v25, v27
	v_add_f16_e32 v27, v27, v38
	;; [unrolled: 1-line block ×3, first 2 shown]
	v_fma_f16 v25, v27, -0.5, v25
	v_sub_f16_e32 v38, v41, v58
	v_add_f16_e32 v27, v44, v41
	v_fma_f16 v41, v38, s0, v25
	v_fma_f16 v25, v38, s1, v25
	v_mul_f16_e32 v38, 0xbaee, v41
	v_mul_f16_e32 v41, 0.5, v41
	v_mul_f16_e32 v44, 0xbaee, v25
	v_mul_f16_e32 v25, -0.5, v25
	v_fma_f16 v41, v61, s0, v41
	v_fma_f16 v25, v28, s0, v25
	v_fma_f16 v38, v61, 0.5, v38
	v_fma_f16 v44, v28, -0.5, v44
	v_add_f16_e32 v61, v45, v41
	v_sub_f16_e32 v41, v45, v41
	v_add_f16_e32 v45, v26, v25
	v_sub_f16_e32 v25, v26, v25
	v_add_f16_e32 v26, v50, v52
	v_add_f16_e32 v27, v27, v58
	;; [unrolled: 1-line block ×3, first 2 shown]
	v_sub_f16_e32 v22, v22, v44
	v_add_f16_e32 v44, v66, v53
	v_sub_f16_e32 v53, v66, v53
	v_fma_f16 v26, v26, -0.5, v15
	v_sub_f16_e32 v66, v30, v32
	v_add_f16_e32 v28, v18, v27
	v_sub_f16_e32 v18, v18, v27
	v_add_f16_e32 v27, v67, v38
	v_sub_f16_e32 v38, v67, v38
	v_fma_f16 v67, v66, s1, v26
	v_fma_f16 v26, v66, s0, v26
	s_waitcnt lgkmcnt(0)
	v_add_f16_e32 v66, v64, v30
	v_add_f16_e32 v30, v30, v32
	;; [unrolled: 1-line block ×3, first 2 shown]
	v_fma_f16 v30, v30, -0.5, v64
	v_sub_f16_e32 v32, v50, v52
	v_add_f16_e32 v15, v15, v50
	v_fma_f16 v50, v32, s0, v30
	v_fma_f16 v30, v32, s1, v30
	v_add_f16_e32 v32, v43, v42
	v_add_f16_e32 v15, v15, v52
	v_fma_f16 v32, v32, -0.5, v46
	v_sub_f16_e32 v52, v31, v48
	v_fma_f16 v64, v52, s1, v32
	v_fma_f16 v32, v52, s0, v32
	v_add_f16_e32 v52, v29, v31
	v_add_f16_e32 v31, v31, v48
	v_fma_f16 v29, v31, -0.5, v29
	v_add_f16_e32 v31, v46, v43
	v_add_f16_e32 v31, v31, v42
	v_sub_f16_e32 v42, v43, v42
	v_fma_f16 v43, v42, s0, v29
	v_fma_f16 v29, v42, s1, v29
	v_mul_f16_e32 v42, 0xbaee, v43
	v_mul_f16_e32 v43, 0.5, v43
	v_mul_f16_e32 v46, 0xbaee, v29
	v_mul_f16_e32 v29, -0.5, v29
	v_fma_f16 v43, v64, s0, v43
	v_fma_f16 v29, v32, s0, v29
	v_add_f16_e32 v52, v52, v48
	v_fma_f16 v42, v64, 0.5, v42
	v_fma_f16 v46, v32, -0.5, v46
	v_add_f16_e32 v64, v50, v43
	v_sub_f16_e32 v43, v50, v43
	v_add_f16_e32 v50, v30, v29
	v_sub_f16_e32 v29, v30, v29
	v_add_f16_e32 v30, v51, v56
	v_add_f16_e32 v48, v26, v46
	v_sub_f16_e32 v26, v26, v46
	v_add_f16_e32 v46, v66, v52
	v_sub_f16_e32 v52, v66, v52
	v_fma_f16 v30, v30, -0.5, v12
	v_sub_f16_e32 v66, v34, v36
	v_add_f16_e32 v32, v15, v31
	v_sub_f16_e32 v15, v15, v31
	v_add_f16_e32 v31, v67, v42
	v_sub_f16_e32 v42, v67, v42
	v_fma_f16 v67, v66, s1, v30
	v_fma_f16 v30, v66, s0, v30
	v_add_f16_e32 v66, v69, v34
	v_add_f16_e32 v34, v34, v36
	v_add_f16_e32 v66, v66, v36
	v_fma_f16 v34, v34, -0.5, v69
	v_sub_f16_e32 v36, v51, v56
	v_add_f16_e32 v12, v12, v51
	v_fma_f16 v51, v36, s0, v34
	v_fma_f16 v34, v36, s1, v34
	v_add_f16_e32 v36, v55, v59
	v_add_f16_e32 v12, v12, v56
	v_fma_f16 v36, v36, -0.5, v47
	v_sub_f16_e32 v56, v35, v49
	v_fma_f16 v68, v56, s1, v36
	v_fma_f16 v36, v56, s0, v36
	v_add_f16_e32 v56, v33, v35
	v_add_f16_e32 v35, v35, v49
	v_fma_f16 v33, v35, -0.5, v33
	v_add_f16_e32 v35, v47, v55
	v_sub_f16_e32 v47, v55, v59
	v_add_f16_e32 v56, v56, v49
	v_fma_f16 v49, v47, s0, v33
	v_fma_f16 v33, v47, s1, v33
	v_mul_f16_e32 v47, 0xbaee, v49
	v_mul_f16_e32 v49, 0.5, v49
	v_mul_f16_e32 v55, 0xbaee, v33
	v_mul_f16_e32 v33, -0.5, v33
	v_fma_f16 v49, v68, s0, v49
	v_fma_f16 v55, v36, -0.5, v55
	v_fma_f16 v33, v36, s0, v33
	v_add_f16_e32 v35, v35, v59
	v_add_f16_e32 v59, v30, v55
	v_sub_f16_e32 v30, v30, v55
	v_add_f16_e32 v55, v66, v56
	v_sub_f16_e32 v56, v66, v56
	;; [unrolled: 2-line block ×4, first 2 shown]
	v_mul_u32_u24_e32 v34, 0x48, v10
	v_mov_b32_e32 v10, 1
	v_lshlrev_b32_sdwa v11, v10, v11 dst_sel:DWORD dst_unused:UNUSED_PAD src0_sel:DWORD src1_sel:BYTE_0
	v_add3_u32 v34, 0, v34, v11
	v_mul_u32_u24_e32 v11, 0x48, v13
	v_lshlrev_b32_e32 v13, 1, v14
	v_add3_u32 v13, 0, v11, v13
	v_mul_u32_u24_e32 v11, 0x48, v16
	v_lshlrev_b32_e32 v14, 1, v17
	v_add3_u32 v14, 0, v11, v14
	v_fma_f16 v47, v68, 0.5, v47
	s_barrier
	ds_write_b16 v34, v39
	ds_write_b16 v34, v24 offset:12
	ds_write_b16 v34, v63 offset:24
	ds_write_b16 v34, v23 offset:36
	ds_write_b16 v34, v37 offset:48
	ds_write_b16 v34, v57 offset:60
	ds_write_b16 v13, v28
	ds_write_b16 v13, v27 offset:12
	ds_write_b16 v13, v58 offset:24
	ds_write_b16 v13, v18 offset:36
	ds_write_b16 v13, v38 offset:48
	ds_write_b16 v13, v22 offset:60
	;; [unrolled: 6-line block ×3, first 2 shown]
	v_mul_u32_u24_e32 v11, 0x48, v19
	v_lshlrev_b32_e32 v15, 1, v20
	v_add_f16_e32 v36, v12, v35
	v_sub_f16_e32 v12, v12, v35
	v_add_f16_e32 v35, v67, v47
	v_sub_f16_e32 v47, v67, v47
	v_add3_u32 v17, 0, v11, v15
	ds_write_b16 v17, v36
	ds_write_b16 v17, v35 offset:12
	ds_write_b16 v17, v59 offset:24
	;; [unrolled: 1-line block ×5, first 2 shown]
	s_waitcnt lgkmcnt(0)
	s_barrier
	ds_read_u16 v16, v0
	ds_read_u16 v15, v0 offset:288
	ds_read_u16 v12, v0 offset:576
	ds_read_u16 v35, v0 offset:2304
	ds_read_u16 v36, v0 offset:2592
	ds_read_u16 v37, v0 offset:2880
	ds_read_u16 v38, v0 offset:4608
	ds_read_u16 v39, v0 offset:4896
	ds_read_u16 v42, v0 offset:5184
	ds_read_u16 v47, v0 offset:1728
	ds_read_u16 v48, v0 offset:2016
	ds_read_u16 v57, v0 offset:1440
	ds_read_u16 v58, v0 offset:1152
	ds_read_u16 v11, v0 offset:864
	ds_read_u16 v59, v0 offset:4032
	ds_read_u16 v63, v0 offset:4320
	ds_read_u16 v67, v0 offset:3744
	ds_read_u16 v68, v0 offset:3456
	ds_read_u16 v69, v0 offset:3168
	ds_read_u16 v70, v0 offset:6336
	ds_read_u16 v71, v0 offset:6624
	ds_read_u16 v72, v0 offset:6048
	ds_read_u16 v73, v0 offset:5760
	ds_read_u16 v74, v0 offset:5472
	s_waitcnt lgkmcnt(0)
	s_barrier
	ds_write_b16 v34, v60
	ds_write_b16 v34, v65 offset:12
	ds_write_b16 v34, v54 offset:24
	ds_write_b16 v34, v62 offset:36
	ds_write_b16 v34, v40 offset:48
	ds_write_b16 v34, v21 offset:60
	ds_write_b16 v13, v44
	ds_write_b16 v13, v61 offset:12
	ds_write_b16 v13, v45 offset:24
	ds_write_b16 v13, v53 offset:36
	ds_write_b16 v13, v41 offset:48
	ds_write_b16 v13, v25 offset:60
	;; [unrolled: 6-line block ×4, first 2 shown]
	v_mov_b32_e32 v13, 57
	v_mul_lo_u16_sdwa v13, v7, v13 dst_sel:DWORD dst_unused:UNUSED_PAD src0_sel:BYTE_0 src1_sel:DWORD
	v_lshrrev_b16_e32 v13, 11, v13
	v_mul_lo_u16_e32 v14, 36, v13
	v_sub_u16_e32 v14, v7, v14
	v_mul_u32_u24_sdwa v9, v14, v9 dst_sel:DWORD dst_unused:UNUSED_PAD src0_sel:BYTE_0 src1_sel:DWORD
	v_lshlrev_b32_e32 v34, 2, v9
	s_waitcnt lgkmcnt(0)
	s_barrier
	global_load_dwordx4 v[18:21], v34, s[12:13] offset:120
	v_mul_u32_u24_sdwa v9, v5, s4 dst_sel:DWORD dst_unused:UNUSED_PAD src0_sel:WORD_0 src1_sel:DWORD
	v_lshrrev_b32_e32 v9, 21, v9
	v_mul_lo_u16_e32 v17, 36, v9
	v_sub_u16_e32 v17, v5, v17
	v_mul_u32_u24_e32 v22, 5, v17
	v_lshlrev_b32_e32 v40, 2, v22
	global_load_dwordx4 v[22:25], v40, s[12:13] offset:120
	v_mul_u32_u24_sdwa v26, v6, s4 dst_sel:DWORD dst_unused:UNUSED_PAD src0_sel:WORD_0 src1_sel:DWORD
	v_lshrrev_b32_e32 v41, 21, v26
	v_mul_lo_u16_e32 v26, 36, v41
	v_sub_u16_e32 v6, v6, v26
	v_mul_u32_u24_e32 v26, 5, v6
	v_lshlrev_b32_e32 v43, 2, v26
	;; [unrolled: 7-line block ×3, first 2 shown]
	global_load_dwordx4 v[30:33], v46, s[12:13] offset:120
	global_load_dword v49, v43, s[12:13] offset:136
	global_load_dword v50, v46, s[12:13] offset:136
	ds_read_u16 v43, v0 offset:2304
	ds_read_u16 v46, v0 offset:2592
	ds_read_u16 v51, v0 offset:2880
	ds_read_u16 v52, v0 offset:1728
	ds_read_u16 v53, v0 offset:2016
	global_load_dword v34, v34, s[12:13] offset:136
	ds_read_u16 v54, v0 offset:1440
	ds_read_u16 v55, v0 offset:1152
	ds_read_u16 v56, v0 offset:864
	ds_read_u16 v60, v0 offset:4032
	ds_read_u16 v61, v0 offset:4320
	;; [unrolled: 6-line block ×3, first 2 shown]
	ds_read_u16 v76, v0 offset:4608
	ds_read_u16 v77, v0 offset:4896
	;; [unrolled: 1-line block ×4, first 2 shown]
	v_lshlrev_b32_sdwa v10, v10, v14 dst_sel:DWORD dst_unused:UNUSED_PAD src0_sel:DWORD src1_sel:BYTE_0
	v_mul_u32_u24_e32 v13, 0x1b0, v13
	v_mul_u32_u24_e32 v9, 0x1b0, v9
	v_lshlrev_b32_e32 v6, 1, v6
	s_movk_i32 s4, 0xd80
	s_waitcnt vmcnt(7) lgkmcnt(12)
	v_mul_f16_sdwa v80, v55, v18 dst_sel:DWORD dst_unused:UNUSED_PAD src0_sel:DWORD src1_sel:WORD_1
	v_fma_f16 v80, v58, v18, v80
	v_mul_f16_sdwa v58, v58, v18 dst_sel:DWORD dst_unused:UNUSED_PAD src0_sel:DWORD src1_sel:WORD_1
	v_fma_f16 v18, v55, v18, -v58
	v_mul_f16_sdwa v55, v43, v19 dst_sel:DWORD dst_unused:UNUSED_PAD src0_sel:DWORD src1_sel:WORD_1
	v_fma_f16 v55, v35, v19, v55
	v_mul_f16_sdwa v35, v35, v19 dst_sel:DWORD dst_unused:UNUSED_PAD src0_sel:DWORD src1_sel:WORD_1
	v_fma_f16 v19, v43, v19, -v35
	s_waitcnt lgkmcnt(7)
	v_mul_f16_sdwa v35, v64, v20 dst_sel:DWORD dst_unused:UNUSED_PAD src0_sel:DWORD src1_sel:WORD_1
	v_mul_f16_sdwa v43, v68, v20 dst_sel:DWORD dst_unused:UNUSED_PAD src0_sel:DWORD src1_sel:WORD_1
	v_fma_f16 v35, v68, v20, v35
	v_fma_f16 v20, v64, v20, -v43
	s_waitcnt lgkmcnt(3)
	v_mul_f16_sdwa v64, v76, v21 dst_sel:DWORD dst_unused:UNUSED_PAD src0_sel:DWORD src1_sel:WORD_1
	v_fma_f16 v64, v38, v21, v64
	v_mul_f16_sdwa v38, v38, v21 dst_sel:DWORD dst_unused:UNUSED_PAD src0_sel:DWORD src1_sel:WORD_1
	v_fma_f16 v21, v76, v21, -v38
	s_waitcnt vmcnt(6)
	v_mul_f16_sdwa v38, v54, v22 dst_sel:DWORD dst_unused:UNUSED_PAD src0_sel:DWORD src1_sel:WORD_1
	v_fma_f16 v38, v57, v22, v38
	v_mul_f16_sdwa v57, v57, v22 dst_sel:DWORD dst_unused:UNUSED_PAD src0_sel:DWORD src1_sel:WORD_1
	v_fma_f16 v22, v54, v22, -v57
	v_mul_f16_sdwa v54, v46, v23 dst_sel:DWORD dst_unused:UNUSED_PAD src0_sel:DWORD src1_sel:WORD_1
	v_fma_f16 v54, v36, v23, v54
	v_mul_f16_sdwa v36, v36, v23 dst_sel:DWORD dst_unused:UNUSED_PAD src0_sel:DWORD src1_sel:WORD_1
	v_fma_f16 v23, v46, v23, -v36
	v_mul_f16_sdwa v36, v62, v24 dst_sel:DWORD dst_unused:UNUSED_PAD src0_sel:DWORD src1_sel:WORD_1
	v_mul_f16_sdwa v46, v67, v24 dst_sel:DWORD dst_unused:UNUSED_PAD src0_sel:DWORD src1_sel:WORD_1
	v_fma_f16 v36, v67, v24, v36
	v_fma_f16 v24, v62, v24, -v46
	s_waitcnt lgkmcnt(2)
	v_mul_f16_sdwa v46, v77, v25 dst_sel:DWORD dst_unused:UNUSED_PAD src0_sel:DWORD src1_sel:WORD_1
	v_fma_f16 v46, v39, v25, v46
	v_mul_f16_sdwa v39, v39, v25 dst_sel:DWORD dst_unused:UNUSED_PAD src0_sel:DWORD src1_sel:WORD_1
	v_fma_f16 v25, v77, v25, -v39
	s_waitcnt vmcnt(5)
	v_mul_f16_sdwa v39, v52, v26 dst_sel:DWORD dst_unused:UNUSED_PAD src0_sel:DWORD src1_sel:WORD_1
	v_fma_f16 v39, v47, v26, v39
	v_mul_f16_sdwa v47, v47, v26 dst_sel:DWORD dst_unused:UNUSED_PAD src0_sel:DWORD src1_sel:WORD_1
	v_fma_f16 v26, v52, v26, -v47
	v_mul_f16_sdwa v47, v51, v27 dst_sel:DWORD dst_unused:UNUSED_PAD src0_sel:DWORD src1_sel:WORD_1
	v_fma_f16 v47, v37, v27, v47
	v_mul_f16_sdwa v37, v37, v27 dst_sel:DWORD dst_unused:UNUSED_PAD src0_sel:DWORD src1_sel:WORD_1
	v_fma_f16 v27, v51, v27, -v37
	v_mul_f16_sdwa v37, v60, v28 dst_sel:DWORD dst_unused:UNUSED_PAD src0_sel:DWORD src1_sel:WORD_1
	v_mul_f16_sdwa v51, v59, v28 dst_sel:DWORD dst_unused:UNUSED_PAD src0_sel:DWORD src1_sel:WORD_1
	v_fma_f16 v37, v59, v28, v37
	v_fma_f16 v28, v60, v28, -v51
	s_waitcnt lgkmcnt(1)
	v_mul_f16_sdwa v51, v78, v29 dst_sel:DWORD dst_unused:UNUSED_PAD src0_sel:DWORD src1_sel:WORD_1
	v_fma_f16 v51, v42, v29, v51
	v_mul_f16_sdwa v42, v42, v29 dst_sel:DWORD dst_unused:UNUSED_PAD src0_sel:DWORD src1_sel:WORD_1
	ds_read_u16 v43, v0 offset:6048
	ds_read_u16 v58, v0 offset:5760
	v_fma_f16 v29, v78, v29, -v42
	s_waitcnt vmcnt(4)
	v_mul_f16_sdwa v42, v53, v30 dst_sel:DWORD dst_unused:UNUSED_PAD src0_sel:DWORD src1_sel:WORD_1
	v_fma_f16 v42, v48, v30, v42
	v_mul_f16_sdwa v48, v48, v30 dst_sel:DWORD dst_unused:UNUSED_PAD src0_sel:DWORD src1_sel:WORD_1
	v_fma_f16 v30, v53, v30, -v48
	v_mul_f16_sdwa v48, v65, v31 dst_sel:DWORD dst_unused:UNUSED_PAD src0_sel:DWORD src1_sel:WORD_1
	v_mul_f16_sdwa v52, v69, v31 dst_sel:DWORD dst_unused:UNUSED_PAD src0_sel:DWORD src1_sel:WORD_1
	v_fma_f16 v48, v69, v31, v48
	v_fma_f16 v31, v65, v31, -v52
	v_mul_f16_sdwa v52, v61, v32 dst_sel:DWORD dst_unused:UNUSED_PAD src0_sel:DWORD src1_sel:WORD_1
	v_mul_f16_sdwa v53, v63, v32 dst_sel:DWORD dst_unused:UNUSED_PAD src0_sel:DWORD src1_sel:WORD_1
	ds_read_u16 v62, v0
	v_fma_f16 v52, v63, v32, v52
	v_fma_f16 v32, v61, v32, -v53
	s_waitcnt lgkmcnt(3)
	v_mul_f16_sdwa v53, v79, v33 dst_sel:DWORD dst_unused:UNUSED_PAD src0_sel:DWORD src1_sel:WORD_1
	v_mul_f16_sdwa v57, v74, v33 dst_sel:DWORD dst_unused:UNUSED_PAD src0_sel:DWORD src1_sel:WORD_1
	v_fma_f16 v53, v74, v33, v53
	v_fma_f16 v33, v79, v33, -v57
	s_waitcnt vmcnt(1) lgkmcnt(1)
	v_mul_f16_sdwa v57, v58, v34 dst_sel:DWORD dst_unused:UNUSED_PAD src0_sel:DWORD src1_sel:WORD_1
	v_mul_f16_sdwa v59, v73, v34 dst_sel:DWORD dst_unused:UNUSED_PAD src0_sel:DWORD src1_sel:WORD_1
	v_fma_f16 v57, v73, v34, v57
	v_fma_f16 v34, v58, v34, -v59
	s_waitcnt vmcnt(0)
	v_mul_f16_sdwa v58, v43, v40 dst_sel:DWORD dst_unused:UNUSED_PAD src0_sel:DWORD src1_sel:WORD_1
	v_mul_f16_sdwa v59, v72, v40 dst_sel:DWORD dst_unused:UNUSED_PAD src0_sel:DWORD src1_sel:WORD_1
	v_fma_f16 v58, v72, v40, v58
	v_fma_f16 v40, v43, v40, -v59
	v_mul_f16_sdwa v43, v66, v49 dst_sel:DWORD dst_unused:UNUSED_PAD src0_sel:DWORD src1_sel:WORD_1
	v_mul_f16_sdwa v59, v70, v49 dst_sel:DWORD dst_unused:UNUSED_PAD src0_sel:DWORD src1_sel:WORD_1
	v_fma_f16 v43, v70, v49, v43
	v_fma_f16 v49, v66, v49, -v59
	v_mul_f16_sdwa v59, v75, v50 dst_sel:DWORD dst_unused:UNUSED_PAD src0_sel:DWORD src1_sel:WORD_1
	v_mul_f16_sdwa v60, v71, v50 dst_sel:DWORD dst_unused:UNUSED_PAD src0_sel:DWORD src1_sel:WORD_1
	v_sub_f16_e32 v61, v19, v21
	s_waitcnt lgkmcnt(0)
	v_add_f16_e32 v66, v62, v19
	v_add_f16_e32 v19, v19, v21
	v_fma_f16 v59, v71, v50, v59
	v_fma_f16 v50, v75, v50, -v60
	v_add_f16_e32 v60, v55, v64
	v_add_f16_e32 v66, v66, v21
	v_fma_f16 v19, v19, -0.5, v62
	v_sub_f16_e32 v21, v55, v64
	v_fma_f16 v60, v60, -0.5, v16
	v_add_f16_e32 v16, v16, v55
	v_fma_f16 v55, v21, s0, v19
	v_fma_f16 v19, v21, s1, v19
	v_add_f16_e32 v21, v35, v57
	v_fma_f16 v21, v21, -0.5, v80
	v_sub_f16_e32 v62, v20, v34
	v_add_f16_e32 v16, v16, v64
	v_fma_f16 v64, v62, s1, v21
	v_fma_f16 v21, v62, s0, v21
	v_add_f16_e32 v62, v18, v20
	v_add_f16_e32 v20, v20, v34
	v_add_f16_e32 v62, v62, v34
	v_fma_f16 v18, v20, -0.5, v18
	v_sub_f16_e32 v34, v35, v57
	v_add_f16_e32 v20, v80, v35
	v_fma_f16 v35, v34, s0, v18
	v_fma_f16 v18, v34, s1, v18
	;; [unrolled: 1-line block ×4, first 2 shown]
	ds_read_u16 v61, v0 offset:288
	ds_read_u16 v65, v0 offset:576
	v_add_f16_e32 v20, v20, v57
	v_mul_f16_e32 v34, 0xbaee, v35
	v_mul_f16_e32 v35, 0.5, v35
	v_mul_f16_e32 v57, 0xbaee, v18
	v_mul_f16_e32 v18, -0.5, v18
	v_fma_f16 v35, v64, s0, v35
	v_fma_f16 v18, v21, s0, v18
	v_fma_f16 v34, v64, 0.5, v34
	v_fma_f16 v57, v21, -0.5, v57
	v_add_f16_e32 v64, v55, v35
	v_sub_f16_e32 v35, v55, v35
	v_add_f16_e32 v55, v19, v18
	v_sub_f16_e32 v18, v19, v18
	v_add_f16_e32 v19, v54, v46
	v_add_f16_e32 v21, v16, v20
	v_sub_f16_e32 v16, v16, v20
	v_add_f16_e32 v20, v63, v34
	v_sub_f16_e32 v34, v63, v34
	v_add_f16_e32 v63, v60, v57
	v_sub_f16_e32 v57, v60, v57
	v_add_f16_e32 v60, v66, v62
	v_sub_f16_e32 v62, v66, v62
	v_fma_f16 v19, v19, -0.5, v15
	v_sub_f16_e32 v66, v23, v25
	v_fma_f16 v67, v66, s1, v19
	v_fma_f16 v19, v66, s0, v19
	s_waitcnt lgkmcnt(1)
	v_add_f16_e32 v66, v61, v23
	v_add_f16_e32 v23, v23, v25
	;; [unrolled: 1-line block ×3, first 2 shown]
	v_fma_f16 v23, v23, -0.5, v61
	v_add_f16_e32 v15, v15, v54
	v_sub_f16_e32 v25, v54, v46
	v_add_f16_e32 v15, v15, v46
	v_fma_f16 v46, v25, s0, v23
	v_fma_f16 v23, v25, s1, v23
	v_add_f16_e32 v25, v36, v58
	v_fma_f16 v25, v25, -0.5, v38
	v_sub_f16_e32 v54, v24, v40
	v_fma_f16 v61, v54, s1, v25
	v_fma_f16 v25, v54, s0, v25
	v_add_f16_e32 v54, v22, v24
	v_add_f16_e32 v24, v24, v40
	v_fma_f16 v22, v24, -0.5, v22
	v_add_f16_e32 v24, v38, v36
	v_sub_f16_e32 v36, v36, v58
	v_fma_f16 v38, v36, s0, v22
	v_fma_f16 v22, v36, s1, v22
	v_add_f16_e32 v54, v54, v40
	v_mul_f16_e32 v36, 0xbaee, v38
	v_mul_f16_e32 v38, 0.5, v38
	v_mul_f16_e32 v40, 0xbaee, v22
	v_mul_f16_e32 v22, -0.5, v22
	v_fma_f16 v38, v61, s0, v38
	v_fma_f16 v22, v25, s0, v22
	v_fma_f16 v36, v61, 0.5, v36
	v_fma_f16 v40, v25, -0.5, v40
	v_add_f16_e32 v61, v46, v38
	v_sub_f16_e32 v38, v46, v38
	v_add_f16_e32 v46, v23, v22
	v_sub_f16_e32 v22, v23, v22
	v_add_f16_e32 v23, v47, v51
	v_add_f16_e32 v24, v24, v58
	v_add_f16_e32 v58, v19, v40
	v_sub_f16_e32 v19, v19, v40
	v_add_f16_e32 v40, v66, v54
	v_sub_f16_e32 v54, v66, v54
	v_fma_f16 v23, v23, -0.5, v12
	v_sub_f16_e32 v66, v27, v29
	v_add_f16_e32 v25, v15, v24
	v_sub_f16_e32 v15, v15, v24
	v_add_f16_e32 v24, v67, v36
	v_sub_f16_e32 v36, v67, v36
	v_fma_f16 v67, v66, s1, v23
	v_fma_f16 v23, v66, s0, v23
	s_waitcnt lgkmcnt(0)
	v_add_f16_e32 v66, v65, v27
	v_add_f16_e32 v27, v27, v29
	;; [unrolled: 1-line block ×3, first 2 shown]
	v_fma_f16 v27, v27, -0.5, v65
	v_sub_f16_e32 v29, v47, v51
	v_add_f16_e32 v12, v12, v47
	v_fma_f16 v47, v29, s0, v27
	v_fma_f16 v27, v29, s1, v27
	v_add_f16_e32 v29, v37, v43
	v_add_f16_e32 v12, v12, v51
	v_fma_f16 v29, v29, -0.5, v39
	v_sub_f16_e32 v51, v28, v49
	v_fma_f16 v65, v51, s1, v29
	v_fma_f16 v29, v51, s0, v29
	v_add_f16_e32 v51, v26, v28
	v_add_f16_e32 v28, v28, v49
	v_fma_f16 v26, v28, -0.5, v26
	v_add_f16_e32 v28, v39, v37
	v_sub_f16_e32 v37, v37, v43
	v_fma_f16 v39, v37, s0, v26
	v_fma_f16 v26, v37, s1, v26
	v_add_f16_e32 v28, v28, v43
	v_mul_f16_e32 v37, 0xbaee, v39
	v_mul_f16_e32 v39, 0.5, v39
	v_mul_f16_e32 v43, 0xbaee, v26
	v_mul_f16_e32 v26, -0.5, v26
	v_fma_f16 v39, v65, s0, v39
	v_fma_f16 v26, v29, s0, v26
	v_add_f16_e32 v51, v51, v49
	v_fma_f16 v37, v65, 0.5, v37
	v_fma_f16 v43, v29, -0.5, v43
	v_add_f16_e32 v65, v47, v39
	v_sub_f16_e32 v39, v47, v39
	v_add_f16_e32 v47, v27, v26
	v_sub_f16_e32 v26, v27, v26
	v_add_f16_e32 v27, v48, v53
	v_add_f16_e32 v49, v23, v43
	v_sub_f16_e32 v23, v23, v43
	v_add_f16_e32 v43, v66, v51
	v_sub_f16_e32 v51, v66, v51
	v_fma_f16 v27, v27, -0.5, v11
	v_sub_f16_e32 v66, v31, v33
	v_add_f16_e32 v29, v12, v28
	v_sub_f16_e32 v12, v12, v28
	v_add_f16_e32 v28, v67, v37
	v_sub_f16_e32 v37, v67, v37
	v_fma_f16 v67, v66, s1, v27
	v_fma_f16 v27, v66, s0, v27
	v_add_f16_e32 v66, v56, v31
	v_add_f16_e32 v31, v31, v33
	;; [unrolled: 1-line block ×3, first 2 shown]
	v_fma_f16 v31, v31, -0.5, v56
	v_sub_f16_e32 v33, v48, v53
	v_add_f16_e32 v11, v11, v48
	v_fma_f16 v48, v33, s0, v31
	v_fma_f16 v31, v33, s1, v31
	v_add_f16_e32 v33, v52, v59
	v_add_f16_e32 v11, v11, v53
	v_fma_f16 v33, v33, -0.5, v42
	v_sub_f16_e32 v53, v32, v50
	v_fma_f16 v56, v53, s1, v33
	v_fma_f16 v33, v53, s0, v33
	v_add_f16_e32 v53, v30, v32
	v_add_f16_e32 v32, v32, v50
	v_fma_f16 v30, v32, -0.5, v30
	v_add_f16_e32 v32, v42, v52
	v_sub_f16_e32 v42, v52, v59
	v_add_f16_e32 v53, v53, v50
	v_fma_f16 v50, v42, s0, v30
	v_fma_f16 v30, v42, s1, v30
	v_mul_f16_e32 v42, 0xbaee, v50
	v_mul_f16_e32 v50, 0.5, v50
	v_mul_f16_e32 v52, 0xbaee, v30
	v_mul_f16_e32 v30, -0.5, v30
	v_fma_f16 v50, v56, s0, v50
	v_fma_f16 v30, v33, s0, v30
	v_add_f16_e32 v32, v32, v59
	v_add_f16_e32 v59, v48, v50
	v_sub_f16_e32 v48, v48, v50
	v_add_f16_e32 v50, v31, v30
	v_sub_f16_e32 v30, v31, v30
	v_add3_u32 v31, 0, v13, v10
	v_lshlrev_b32_e32 v10, 1, v17
	v_add3_u32 v9, 0, v9, v10
	v_mul_u32_u24_e32 v10, 0x1b0, v41
	v_add3_u32 v6, 0, v10, v6
	s_barrier
	ds_write_b16 v31, v21
	ds_write_b16 v31, v20 offset:72
	ds_write_b16 v31, v63 offset:144
	ds_write_b16 v31, v16 offset:216
	ds_write_b16 v31, v34 offset:288
	ds_write_b16 v31, v57 offset:360
	ds_write_b16 v9, v25
	ds_write_b16 v9, v24 offset:72
	ds_write_b16 v9, v58 offset:144
	ds_write_b16 v9, v15 offset:216
	ds_write_b16 v9, v36 offset:288
	ds_write_b16 v9, v19 offset:360
	;; [unrolled: 6-line block ×3, first 2 shown]
	v_mul_u32_u24_e32 v10, 0x1b0, v44
	v_lshlrev_b32_e32 v12, 1, v45
	v_fma_f16 v42, v56, 0.5, v42
	v_fma_f16 v52, v33, -0.5, v52
	v_add_f16_e32 v33, v11, v32
	v_sub_f16_e32 v11, v11, v32
	v_add3_u32 v19, 0, v10, v12
	s_movk_i32 s0, 0x48
	v_add_f16_e32 v32, v67, v42
	v_sub_f16_e32 v42, v67, v42
	v_add_f16_e32 v56, v27, v52
	v_sub_f16_e32 v27, v27, v52
	ds_write_b16 v19, v33
	ds_write_b16 v19, v32 offset:72
	ds_write_b16 v19, v56 offset:144
	;; [unrolled: 1-line block ×5, first 2 shown]
	v_add_u32_e32 v11, 0xffffffb8, v7
	v_cmp_gt_u32_e64 s[0:1], s0, v7
	v_add_f16_e32 v52, v66, v53
	v_sub_f16_e32 v53, v66, v53
	s_waitcnt lgkmcnt(0)
	s_barrier
	ds_read_u16 v41, v0 offset:2304
	ds_read_u16 v17, v0
	ds_read_u16 v16, v0 offset:288
	ds_read_u16 v15, v0 offset:576
	;; [unrolled: 1-line block ×14, first 2 shown]
	v_lshl_add_u32 v10, v7, 1, 0
	ds_read_u16 v68, v0 offset:3744
	ds_read_u16 v69, v0 offset:3456
	ds_read_u16 v70, v0 offset:3168
	ds_read_u16 v13, v10 offset:1440
	ds_read_u16 v71, v0 offset:6624
	ds_read_u16 v72, v0 offset:5472
	ds_read_u16 v73, v0 offset:5184
	ds_read_u16 v74, v0 offset:4896
	s_waitcnt lgkmcnt(0)
	s_barrier
	ds_write_b16 v31, v60
	ds_write_b16 v31, v64 offset:72
	ds_write_b16 v31, v55 offset:144
	ds_write_b16 v31, v62 offset:216
	ds_write_b16 v31, v35 offset:288
	ds_write_b16 v31, v18 offset:360
	ds_write_b16 v9, v40
	ds_write_b16 v9, v61 offset:72
	ds_write_b16 v9, v46 offset:144
	ds_write_b16 v9, v54 offset:216
	ds_write_b16 v9, v38 offset:288
	ds_write_b16 v9, v22 offset:360
	;; [unrolled: 6-line block ×4, first 2 shown]
	v_mul_u32_u24_e32 v6, 3, v7
	v_cndmask_b32_e64 v11, v11, v5, s[0:1]
	v_lshlrev_b32_e32 v9, 2, v6
	v_mov_b32_e32 v6, 0
	v_mul_i32_i24_e32 v5, 3, v11
	v_lshlrev_b64 v[18:19], 2, v[5:6]
	v_mov_b32_e32 v5, s13
	v_add_co_u32_e64 v18, s[0:1], s12, v18
	v_addc_co_u32_e64 v19, s[0:1], v5, v19, s[0:1]
	v_lshrrev_b16_e32 v5, 3, v8
	v_mul_u32_u24_e32 v5, 0x12f7, v5
	s_waitcnt lgkmcnt(0)
	s_barrier
	global_load_dwordx3 v[20:22], v9, s[12:13] offset:840
	v_lshrrev_b32_e32 v5, 17, v5
	v_mul_lo_u16_e32 v5, 0xd8, v5
	v_sub_u16_e32 v5, v8, v5
	v_mul_u32_u24_e32 v8, 3, v5
	v_lshlrev_b32_e32 v8, 2, v8
	global_load_dwordx3 v[23:25], v[18:19], off offset:840
	global_load_dwordx3 v[26:28], v9, s[12:13] offset:1704
	global_load_dwordx3 v[29:31], v8, s[12:13] offset:840
	v_add_u16_e32 v8, 0x240, v7
	v_lshrrev_b16_e32 v18, 3, v8
	v_mul_u32_u24_e32 v18, 0x12f7, v18
	v_lshrrev_b32_e32 v18, 17, v18
	v_mul_lo_u16_e32 v19, 0xd8, v18
	v_sub_u16_e32 v19, v8, v19
	v_mul_u32_u24_e32 v8, 3, v19
	v_lshlrev_b32_e32 v8, 2, v8
	global_load_dwordx3 v[32:34], v8, s[12:13] offset:840
	v_add_u32_e32 v8, 0x2d0, v7
	v_lshrrev_b16_e32 v35, 3, v8
	v_mul_u32_u24_e32 v35, 0x12f7, v35
	v_lshrrev_b32_e32 v35, 17, v35
	v_mul_lo_u16_e32 v35, 0xd8, v35
	v_sub_u16_e32 v39, v8, v35
	v_mul_u32_u24_e32 v35, 3, v39
	v_lshlrev_b32_e32 v35, 2, v35
	global_load_dwordx3 v[35:37], v35, s[12:13] offset:840
	ds_read_u16 v38, v0 offset:2304
	ds_read_u16 v40, v0 offset:2016
	;; [unrolled: 1-line block ×17, first 2 shown]
	s_movk_i32 s0, 0x47
	v_cmp_lt_u32_e64 s[0:1], s0, v7
	v_lshlrev_b32_e32 v11, 1, v11
	v_lshl_add_u32 v5, v5, 1, 0
	v_lshl_add_u32 v39, v39, 1, 0
	s_waitcnt vmcnt(5) lgkmcnt(14)
	v_mul_f16_sdwa v62, v43, v20 dst_sel:DWORD dst_unused:UNUSED_PAD src0_sel:DWORD src1_sel:WORD_1
	v_fma_f16 v62, v44, v20, v62
	v_mul_f16_sdwa v44, v44, v20 dst_sel:DWORD dst_unused:UNUSED_PAD src0_sel:DWORD src1_sel:WORD_1
	v_fma_f16 v20, v43, v20, -v44
	s_waitcnt lgkmcnt(0)
	v_mul_f16_sdwa v44, v65, v21 dst_sel:DWORD dst_unused:UNUSED_PAD src0_sel:DWORD src1_sel:WORD_1
	v_fma_f16 v44, v69, v21, v44
	v_mul_f16_sdwa v69, v69, v21 dst_sel:DWORD dst_unused:UNUSED_PAD src0_sel:DWORD src1_sel:WORD_1
	v_fma_f16 v21, v65, v21, -v69
	v_mul_f16_sdwa v65, v60, v22 dst_sel:DWORD dst_unused:UNUSED_PAD src0_sel:DWORD src1_sel:WORD_1
	v_mul_f16_sdwa v69, v73, v22 dst_sel:DWORD dst_unused:UNUSED_PAD src0_sel:DWORD src1_sel:WORD_1
	v_fma_f16 v65, v73, v22, v65
	v_fma_f16 v22, v60, v22, -v69
	s_waitcnt vmcnt(4)
	v_mul_f16_sdwa v60, v40, v23 dst_sel:DWORD dst_unused:UNUSED_PAD src0_sel:DWORD src1_sel:WORD_1
	v_fma_f16 v60, v42, v23, v60
	v_mul_f16_sdwa v42, v42, v23 dst_sel:DWORD dst_unused:UNUSED_PAD src0_sel:DWORD src1_sel:WORD_1
	v_fma_f16 v23, v40, v23, -v42
	v_mul_f16_sdwa v40, v64, v24 dst_sel:DWORD dst_unused:UNUSED_PAD src0_sel:DWORD src1_sel:WORD_1
	v_mul_f16_sdwa v42, v68, v24 dst_sel:DWORD dst_unused:UNUSED_PAD src0_sel:DWORD src1_sel:WORD_1
	v_fma_f16 v40, v68, v24, v40
	v_fma_f16 v24, v64, v24, -v42
	v_mul_f16_sdwa v42, v59, v25 dst_sel:DWORD dst_unused:UNUSED_PAD src0_sel:DWORD src1_sel:WORD_1
	v_mul_f16_sdwa v64, v72, v25 dst_sel:DWORD dst_unused:UNUSED_PAD src0_sel:DWORD src1_sel:WORD_1
	ds_read_u16 v43, v0 offset:3168
	v_fma_f16 v42, v72, v25, v42
	v_fma_f16 v25, v59, v25, -v64
	ds_read_u16 v59, v0 offset:2592
	ds_read_u16 v64, v0 offset:2880
	s_waitcnt vmcnt(3)
	v_mul_f16_sdwa v68, v38, v26 dst_sel:DWORD dst_unused:UNUSED_PAD src0_sel:DWORD src1_sel:WORD_1
	v_fma_f16 v68, v41, v26, v68
	v_mul_f16_sdwa v41, v41, v26 dst_sel:DWORD dst_unused:UNUSED_PAD src0_sel:DWORD src1_sel:WORD_1
	v_fma_f16 v26, v38, v26, -v41
	v_mul_f16_sdwa v38, v47, v27 dst_sel:DWORD dst_unused:UNUSED_PAD src0_sel:DWORD src1_sel:WORD_1
	v_mul_f16_sdwa v41, v56, v27 dst_sel:DWORD dst_unused:UNUSED_PAD src0_sel:DWORD src1_sel:WORD_1
	v_fma_f16 v38, v56, v27, v38
	v_fma_f16 v27, v47, v27, -v41
	v_mul_f16_sdwa v41, v51, v28 dst_sel:DWORD dst_unused:UNUSED_PAD src0_sel:DWORD src1_sel:WORD_1
	v_mul_f16_sdwa v47, v63, v28 dst_sel:DWORD dst_unused:UNUSED_PAD src0_sel:DWORD src1_sel:WORD_1
	v_fma_f16 v41, v63, v28, v41
	v_fma_f16 v28, v51, v28, -v47
	s_waitcnt vmcnt(2) lgkmcnt(1)
	v_mul_f16_sdwa v47, v59, v29 dst_sel:DWORD dst_unused:UNUSED_PAD src0_sel:DWORD src1_sel:WORD_1
	v_fma_f16 v47, v45, v29, v47
	v_mul_f16_sdwa v45, v45, v29 dst_sel:DWORD dst_unused:UNUSED_PAD src0_sel:DWORD src1_sel:WORD_1
	v_fma_f16 v29, v59, v29, -v45
	v_mul_f16_sdwa v45, v48, v30 dst_sel:DWORD dst_unused:UNUSED_PAD src0_sel:DWORD src1_sel:WORD_1
	v_mul_f16_sdwa v51, v57, v30 dst_sel:DWORD dst_unused:UNUSED_PAD src0_sel:DWORD src1_sel:WORD_1
	v_fma_f16 v45, v57, v30, v45
	v_fma_f16 v30, v48, v30, -v51
	v_mul_f16_sdwa v48, v52, v31 dst_sel:DWORD dst_unused:UNUSED_PAD src0_sel:DWORD src1_sel:WORD_1
	v_mul_f16_sdwa v51, v66, v31 dst_sel:DWORD dst_unused:UNUSED_PAD src0_sel:DWORD src1_sel:WORD_1
	v_fma_f16 v48, v66, v31, v48
	v_fma_f16 v31, v52, v31, -v51
	s_waitcnt vmcnt(1) lgkmcnt(0)
	v_mul_f16_sdwa v51, v64, v32 dst_sel:DWORD dst_unused:UNUSED_PAD src0_sel:DWORD src1_sel:WORD_1
	v_fma_f16 v51, v49, v32, v51
	v_mul_f16_sdwa v49, v49, v32 dst_sel:DWORD dst_unused:UNUSED_PAD src0_sel:DWORD src1_sel:WORD_1
	v_fma_f16 v32, v64, v32, -v49
	v_mul_f16_sdwa v49, v50, v33 dst_sel:DWORD dst_unused:UNUSED_PAD src0_sel:DWORD src1_sel:WORD_1
	v_mul_f16_sdwa v52, v58, v33 dst_sel:DWORD dst_unused:UNUSED_PAD src0_sel:DWORD src1_sel:WORD_1
	v_fma_f16 v49, v58, v33, v49
	v_fma_f16 v33, v50, v33, -v52
	v_mul_f16_sdwa v50, v53, v34 dst_sel:DWORD dst_unused:UNUSED_PAD src0_sel:DWORD src1_sel:WORD_1
	v_mul_f16_sdwa v52, v67, v34 dst_sel:DWORD dst_unused:UNUSED_PAD src0_sel:DWORD src1_sel:WORD_1
	v_fma_f16 v50, v67, v34, v50
	v_fma_f16 v34, v53, v34, -v52
	s_waitcnt vmcnt(0)
	v_mul_f16_sdwa v52, v43, v35 dst_sel:DWORD dst_unused:UNUSED_PAD src0_sel:DWORD src1_sel:WORD_1
	v_mul_f16_sdwa v53, v70, v35 dst_sel:DWORD dst_unused:UNUSED_PAD src0_sel:DWORD src1_sel:WORD_1
	v_fma_f16 v52, v70, v35, v52
	v_fma_f16 v35, v43, v35, -v53
	v_mul_f16_sdwa v43, v61, v36 dst_sel:DWORD dst_unused:UNUSED_PAD src0_sel:DWORD src1_sel:WORD_1
	v_mul_f16_sdwa v53, v74, v36 dst_sel:DWORD dst_unused:UNUSED_PAD src0_sel:DWORD src1_sel:WORD_1
	v_fma_f16 v43, v74, v36, v43
	v_fma_f16 v36, v61, v36, -v53
	;; [unrolled: 4-line block ×3, first 2 shown]
	ds_read_u16 v54, v0
	ds_read_u16 v56, v0 offset:288
	ds_read_u16 v57, v0 offset:576
	;; [unrolled: 1-line block ×3, first 2 shown]
	v_sub_f16_e32 v22, v20, v22
	s_waitcnt lgkmcnt(3)
	v_sub_f16_e32 v21, v54, v21
	v_sub_f16_e32 v44, v17, v44
	v_fma_f16 v54, v54, 2.0, -v21
	v_sub_f16_e32 v59, v62, v65
	v_fma_f16 v20, v20, 2.0, -v22
	v_fma_f16 v61, v62, 2.0, -v59
	v_sub_f16_e32 v62, v54, v20
	v_add_f16_e32 v20, v44, v22
	v_sub_f16_e32 v59, v21, v59
	s_waitcnt lgkmcnt(2)
	v_sub_f16_e32 v24, v56, v24
	v_sub_f16_e32 v25, v23, v25
	v_fma_f16 v17, v17, 2.0, -v44
	v_fma_f16 v22, v44, 2.0, -v20
	;; [unrolled: 1-line block ×3, first 2 shown]
	v_sub_f16_e32 v21, v16, v40
	v_fma_f16 v40, v56, 2.0, -v24
	v_sub_f16_e32 v42, v60, v42
	v_fma_f16 v23, v23, 2.0, -v25
	v_fma_f16 v56, v60, 2.0, -v42
	v_sub_f16_e32 v60, v40, v23
	v_add_f16_e32 v23, v21, v25
	s_waitcnt lgkmcnt(1)
	v_sub_f16_e32 v25, v57, v27
	v_sub_f16_e32 v28, v26, v28
	v_fma_f16 v27, v57, 2.0, -v25
	v_fma_f16 v26, v26, 2.0, -v28
	v_sub_f16_e32 v42, v24, v42
	v_sub_f16_e32 v57, v27, v26
	v_fma_f16 v63, v24, 2.0, -v42
	v_sub_f16_e32 v24, v15, v38
	v_sub_f16_e32 v38, v68, v41
	v_fma_f16 v64, v27, 2.0, -v57
	s_waitcnt lgkmcnt(0)
	v_sub_f16_e32 v27, v58, v30
	v_sub_f16_e32 v31, v29, v31
	v_fma_f16 v41, v68, 2.0, -v38
	v_add_f16_e32 v26, v24, v28
	v_sub_f16_e32 v38, v25, v38
	v_fma_f16 v28, v58, 2.0, -v27
	v_sub_f16_e32 v30, v47, v48
	v_fma_f16 v29, v29, 2.0, -v31
	;; [unrolled: 2-line block ×4, first 2 shown]
	v_sub_f16_e32 v47, v28, v29
	v_sub_f16_e32 v29, v46, v33
	;; [unrolled: 1-line block ×3, first 2 shown]
	v_fma_f16 v17, v17, 2.0, -v61
	v_fma_f16 v48, v28, 2.0, -v47
	v_add_f16_e32 v28, v25, v31
	v_sub_f16_e32 v58, v27, v30
	v_fma_f16 v30, v46, 2.0, -v29
	v_sub_f16_e32 v31, v51, v50
	v_fma_f16 v32, v32, 2.0, -v33
	v_fma_f16 v16, v16, 2.0, -v21
	;; [unrolled: 1-line block ×4, first 2 shown]
	v_sub_f16_e32 v27, v12, v49
	v_fma_f16 v34, v51, 2.0, -v31
	v_sub_f16_e32 v46, v30, v32
	v_sub_f16_e32 v50, v29, v31
	;; [unrolled: 1-line block ×4, first 2 shown]
	s_barrier
	ds_write_b16 v0, v17
	ds_write_b16 v0, v22 offset:432
	ds_write_b16 v0, v61 offset:864
	;; [unrolled: 1-line block ×3, first 2 shown]
	v_mov_b32_e32 v17, 0x6c0
	v_sub_f16_e32 v56, v16, v56
	v_fma_f16 v15, v15, 2.0, -v24
	v_sub_f16_e32 v45, v14, v45
	v_fma_f16 v49, v30, 2.0, -v46
	v_add_f16_e32 v30, v27, v33
	v_fma_f16 v51, v29, 2.0, -v50
	v_sub_f16_e32 v29, v13, v43
	v_fma_f16 v32, v55, 2.0, -v31
	v_sub_f16_e32 v33, v52, v53
	v_fma_f16 v35, v35, 2.0, -v36
	v_cndmask_b32_e64 v17, 0, v17, s[0:1]
	v_fma_f16 v16, v16, 2.0, -v56
	v_sub_f16_e32 v41, v15, v41
	v_fma_f16 v14, v14, 2.0, -v45
	v_fma_f16 v12, v12, 2.0, -v27
	v_fma_f16 v13, v13, 2.0, -v29
	v_fma_f16 v37, v52, 2.0, -v33
	v_sub_f16_e32 v35, v32, v35
	v_add3_u32 v53, 0, v17, v11
	v_fma_f16 v21, v21, 2.0, -v23
	v_fma_f16 v15, v15, 2.0, -v41
	;; [unrolled: 1-line block ×4, first 2 shown]
	v_sub_f16_e32 v34, v12, v34
	v_sub_f16_e32 v37, v13, v37
	v_fma_f16 v43, v32, 2.0, -v35
	v_add_f16_e32 v32, v29, v36
	ds_write_b16 v53, v16
	ds_write_b16 v53, v21 offset:432
	ds_write_b16 v53, v56 offset:864
	;; [unrolled: 1-line block ×11, first 2 shown]
	v_mul_u32_u24_e32 v11, 0x6c0, v18
	v_lshlrev_b32_e32 v14, 1, v19
	v_fma_f16 v12, v12, 2.0, -v34
	v_fma_f16 v27, v27, 2.0, -v30
	;; [unrolled: 1-line block ×3, first 2 shown]
	v_sub_f16_e32 v36, v31, v33
	v_fma_f16 v29, v29, 2.0, -v32
	v_add3_u32 v41, 0, v11, v14
	v_fma_f16 v52, v31, 2.0, -v36
	ds_write_b16 v41, v12
	ds_write_b16 v41, v27 offset:432
	ds_write_b16 v41, v34 offset:864
	;; [unrolled: 1-line block ×7, first 2 shown]
	s_waitcnt lgkmcnt(0)
	s_barrier
	ds_read_u16 v20, v0 offset:2304
	ds_read_u16 v11, v0
	ds_read_u16 v13, v0 offset:288
	ds_read_u16 v18, v0 offset:576
	;; [unrolled: 1-line block ×22, first 2 shown]
	v_fma_f16 v54, v54, 2.0, -v62
	v_fma_f16 v40, v40, 2.0, -v60
	s_waitcnt lgkmcnt(0)
	s_barrier
	ds_write_b16 v0, v54
	ds_write_b16 v0, v44 offset:432
	ds_write_b16 v0, v62 offset:864
	;; [unrolled: 1-line block ×3, first 2 shown]
	ds_write_b16 v53, v40
	ds_write_b16 v53, v63 offset:432
	ds_write_b16 v53, v60 offset:864
	;; [unrolled: 1-line block ×11, first 2 shown]
	ds_write_b16 v41, v49
	ds_write_b16 v41, v51 offset:432
	ds_write_b16 v41, v46 offset:864
	;; [unrolled: 1-line block ×7, first 2 shown]
	s_waitcnt lgkmcnt(0)
	s_barrier
	s_and_saveexec_b64 s[0:1], vcc
	s_cbranch_execz .LBB0_15
; %bb.14:
	v_mul_u32_u24_e32 v5, 3, v8
	v_lshlrev_b32_e32 v5, 2, v5
	global_load_dwordx3 v[35:37], v5, s[12:13] offset:3432
	v_mov_b32_e32 v5, 0xfffffe50
	v_mad_u32_u24 v5, v8, 3, v5
	v_lshlrev_b64 v[38:39], 2, v[5:6]
	v_mov_b32_e32 v52, s13
	v_add_co_u32_e32 v38, vcc, s12, v38
	v_addc_co_u32_e32 v39, vcc, v52, v39, vcc
	global_load_dwordx3 v[38:40], v[38:39], off offset:3432
	v_mul_lo_u32 v47, s3, v3
	v_mad_u64_u32 v[50:51], s[0:1], s2, v3, 0
	v_mov_b32_e32 v3, 0xfffffca0
	v_mad_u32_u24 v5, v8, 3, v3
	v_mul_lo_u32 v48, s2, v4
	v_lshlrev_b64 v[3:4], 2, v[5:6]
	ds_read_u16 v53, v0 offset:4896
	ds_read_u16 v10, v10 offset:1440
	v_add_co_u32_e32 v3, vcc, s12, v3
	v_addc_co_u32_e32 v4, vcc, v52, v4, vcc
	ds_read_u16 v54, v0 offset:4608
	ds_read_u16 v55, v0 offset:4320
	;; [unrolled: 1-line block ×8, first 2 shown]
	v_mov_b32_e32 v49, 0xfffffaf0
	ds_read_u16 v62, v0 offset:6624
	ds_read_u16 v63, v0 offset:6336
	;; [unrolled: 1-line block ×6, first 2 shown]
	global_load_dwordx3 v[41:43], v[3:4], off offset:3432
	v_add_co_u32_e32 v3, vcc, s12, v9
	v_addc_co_u32_e32 v4, vcc, 0, v52, vcc
	v_mad_u32_u24 v5, v8, 3, v49
	global_load_dwordx3 v[44:46], v[3:4], off offset:3432
	v_lshlrev_b64 v[3:4], 2, v[5:6]
	v_add3_u32 v51, v51, v48, v47
	v_add_co_u32_e32 v3, vcc, s12, v3
	v_addc_co_u32_e32 v4, vcc, v52, v4, vcc
	global_load_dwordx3 v[47:49], v[3:4], off offset:3432
	s_mov_b32 s0, 0x97b425f
	s_movk_i32 s1, 0x1000
	s_waitcnt vmcnt(4) lgkmcnt(14)
	v_mul_f16_sdwa v3, v36, v53 dst_sel:DWORD dst_unused:UNUSED_PAD src0_sel:WORD_1 src1_sel:DWORD
	v_mul_f16_sdwa v4, v32, v35 dst_sel:DWORD dst_unused:UNUSED_PAD src0_sel:DWORD src1_sel:WORD_1
	v_mul_f16_sdwa v5, v33, v37 dst_sel:DWORD dst_unused:UNUSED_PAD src0_sel:DWORD src1_sel:WORD_1
	;; [unrolled: 1-line block ×3, first 2 shown]
	s_waitcnt lgkmcnt(8)
	v_mul_f16_sdwa v68, v59, v35 dst_sel:DWORD dst_unused:UNUSED_PAD src0_sel:DWORD src1_sel:WORD_1
	s_waitcnt lgkmcnt(5)
	v_mul_f16_sdwa v69, v62, v37 dst_sel:DWORD dst_unused:UNUSED_PAD src0_sel:DWORD src1_sel:WORD_1
	v_fma_f16 v3, v34, v36, v3
	v_fma_f16 v4, v35, v59, -v4
	v_fma_f16 v5, v37, v62, -v5
	;; [unrolled: 1-line block ×3, first 2 shown]
	v_fma_f16 v32, v32, v35, v68
	v_fma_f16 v33, v33, v37, v69
	v_sub_f16_e32 v3, v31, v3
	v_sub_f16_e32 v5, v4, v5
	;; [unrolled: 1-line block ×4, first 2 shown]
	v_add_f16_e32 v34, v3, v5
	v_fma_f16 v4, v4, 2.0, -v5
	s_waitcnt vmcnt(3)
	v_mul_f16_sdwa v5, v39, v54 dst_sel:DWORD dst_unused:UNUSED_PAD src0_sel:WORD_1 src1_sel:DWORD
	v_sub_f16_e32 v35, v9, v33
	v_fma_f16 v31, v31, 2.0, -v3
	v_fma_f16 v32, v32, 2.0, -v33
	v_mul_f16_sdwa v33, v28, v38 dst_sel:DWORD dst_unused:UNUSED_PAD src0_sel:DWORD src1_sel:WORD_1
	v_mul_f16_sdwa v36, v29, v40 dst_sel:DWORD dst_unused:UNUSED_PAD src0_sel:DWORD src1_sel:WORD_1
	v_fma_f16 v37, v3, 2.0, -v34
	v_fma_f16 v3, v30, v39, v5
	v_fma_f16 v33, v38, v60, -v33
	v_sub_f16_e32 v59, v27, v3
	s_waitcnt lgkmcnt(4)
	v_fma_f16 v3, v40, v63, -v36
	v_sub_f16_e32 v36, v33, v3
	v_mov_b32_e32 v3, 0xfffff940
	v_fma_f16 v10, v10, 2.0, -v9
	v_mad_u32_u24 v5, v8, 3, v3
	v_sub_f16_e32 v53, v10, v4
	v_lshlrev_b64 v[3:4], 2, v[5:6]
	ds_read_u16 v69, v0 offset:1152
	v_add_co_u32_e32 v3, vcc, s12, v3
	v_addc_co_u32_e32 v4, vcc, v52, v4, vcc
	global_load_dwordx3 v[3:5], v[3:4], off offset:3432
	v_mul_f16_sdwa v60, v60, v38 dst_sel:DWORD dst_unused:UNUSED_PAD src0_sel:DWORD src1_sel:WORD_1
	v_mul_f16_sdwa v30, v30, v39 dst_sel:DWORD dst_unused:UNUSED_PAD src0_sel:DWORD src1_sel:WORD_1
	v_fma_f16 v28, v28, v38, v60
	v_mul_f16_sdwa v38, v63, v40 dst_sel:DWORD dst_unused:UNUSED_PAD src0_sel:DWORD src1_sel:WORD_1
	v_fma_f16 v8, v39, v54, -v30
	v_fma_f16 v29, v29, v40, v38
	s_waitcnt lgkmcnt(0)
	v_sub_f16_e32 v8, v69, v8
	v_sub_f16_e32 v29, v28, v29
	ds_read_u16 v30, v0 offset:2304
	ds_read_u16 v39, v0 offset:2016
	;; [unrolled: 1-line block ×4, first 2 shown]
	v_sub_f16_e32 v38, v8, v29
	v_fma_f16 v28, v28, 2.0, -v29
	v_fma_f16 v29, v33, 2.0, -v36
	s_waitcnt vmcnt(3)
	v_mul_f16_sdwa v33, v42, v55 dst_sel:DWORD dst_unused:UNUSED_PAD src0_sel:WORD_1 src1_sel:DWORD
	v_fma_f16 v33, v26, v42, v33
	v_mul_f16_sdwa v26, v26, v42 dst_sel:DWORD dst_unused:UNUSED_PAD src0_sel:DWORD src1_sel:WORD_1
	v_add_f16_e32 v62, v59, v36
	v_mul_f16_sdwa v36, v24, v41 dst_sel:DWORD dst_unused:UNUSED_PAD src0_sel:DWORD src1_sel:WORD_1
	v_fma_f16 v26, v42, v55, -v26
	v_mul_f16_sdwa v55, v61, v41 dst_sel:DWORD dst_unused:UNUSED_PAD src0_sel:DWORD src1_sel:WORD_1
	v_fma_f16 v68, v59, 2.0, -v62
	v_fma_f16 v27, v27, 2.0, -v59
	v_fma_f16 v36, v41, v61, -v36
	v_mul_f16_sdwa v59, v25, v43 dst_sel:DWORD dst_unused:UNUSED_PAD src0_sel:DWORD src1_sel:WORD_1
	v_fma_f16 v24, v24, v41, v55
	v_mul_f16_sdwa v41, v64, v43 dst_sel:DWORD dst_unused:UNUSED_PAD src0_sel:DWORD src1_sel:WORD_1
	v_fma_f16 v59, v43, v64, -v59
	v_fma_f16 v25, v25, v43, v41
	v_sub_f16_e32 v33, v23, v33
	v_sub_f16_e32 v59, v36, v59
	s_waitcnt lgkmcnt(0)
	v_sub_f16_e32 v26, v54, v26
	v_sub_f16_e32 v25, v24, v25
	v_add_f16_e32 v60, v33, v59
	ds_read_u16 v42, v0 offset:576
	v_sub_f16_e32 v41, v26, v25
	v_fma_f16 v63, v33, 2.0, -v60
	v_fma_f16 v43, v26, 2.0, -v41
	;; [unrolled: 1-line block ×6, first 2 shown]
	s_waitcnt vmcnt(1)
	v_mul_f16_sdwa v33, v48, v56 dst_sel:DWORD dst_unused:UNUSED_PAD src0_sel:WORD_1 src1_sel:DWORD
	v_mul_f16_sdwa v36, v20, v47 dst_sel:DWORD dst_unused:UNUSED_PAD src0_sel:DWORD src1_sel:WORD_1
	v_mul_f16_sdwa v54, v21, v49 dst_sel:DWORD dst_unused:UNUSED_PAD src0_sel:DWORD src1_sel:WORD_1
	v_fma_f16 v33, v22, v48, v33
	v_fma_f16 v36, v47, v30, -v36
	v_fma_f16 v54, v49, v65, -v54
	v_mul_f16_sdwa v30, v30, v47 dst_sel:DWORD dst_unused:UNUSED_PAD src0_sel:DWORD src1_sel:WORD_1
	v_sub_f16_e32 v33, v18, v33
	v_sub_f16_e32 v54, v36, v54
	v_mul_f16_sdwa v22, v22, v48 dst_sel:DWORD dst_unused:UNUSED_PAD src0_sel:DWORD src1_sel:WORD_1
	v_fma_f16 v20, v20, v47, v30
	v_mul_f16_sdwa v30, v65, v49 dst_sel:DWORD dst_unused:UNUSED_PAD src0_sel:DWORD src1_sel:WORD_1
	v_add_f16_e32 v55, v33, v54
	v_fma_f16 v22, v48, v56, -v22
	ds_read_u16 v48, v0 offset:288
	v_fma_f16 v21, v21, v49, v30
	v_fma_f16 v59, v33, 2.0, -v55
	s_waitcnt lgkmcnt(1)
	v_sub_f16_e32 v22, v42, v22
	v_sub_f16_e32 v21, v20, v21
	v_fma_f16 v18, v18, 2.0, -v33
	v_sub_f16_e32 v30, v22, v21
	v_fma_f16 v47, v22, 2.0, -v30
	v_fma_f16 v20, v20, 2.0, -v21
	;; [unrolled: 1-line block ×4, first 2 shown]
	ds_read_u16 v0, v0
	v_sub_f16_e32 v20, v18, v20
	v_sub_f16_e32 v22, v21, v22
	v_fma_f16 v18, v18, 2.0, -v20
	v_fma_f16 v21, v21, 2.0, -v22
	v_sub_f16_e32 v24, v23, v24
	v_sub_f16_e32 v26, v25, v26
	v_fma_f16 v23, v23, 2.0, -v24
	v_fma_f16 v25, v25, 2.0, -v26
	;; [unrolled: 1-line block ×4, first 2 shown]
	v_sub_f16_e32 v28, v27, v28
	v_sub_f16_e32 v29, v8, v29
	v_fma_f16 v27, v27, 2.0, -v28
	s_waitcnt vmcnt(0)
	v_mul_f16_sdwa v33, v4, v57 dst_sel:DWORD dst_unused:UNUSED_PAD src0_sel:WORD_1 src1_sel:DWORD
	v_fma_f16 v33, v19, v4, v33
	v_mul_f16_sdwa v19, v19, v4 dst_sel:DWORD dst_unused:UNUSED_PAD src0_sel:DWORD src1_sel:WORD_1
	v_mul_f16_sdwa v36, v16, v3 dst_sel:DWORD dst_unused:UNUSED_PAD src0_sel:DWORD src1_sel:WORD_1
	v_fma_f16 v4, v4, v57, -v19
	v_mul_f16_sdwa v19, v39, v3 dst_sel:DWORD dst_unused:UNUSED_PAD src0_sel:DWORD src1_sel:WORD_1
	v_fma_f16 v36, v3, v39, -v36
	v_mul_f16_sdwa v42, v17, v5 dst_sel:DWORD dst_unused:UNUSED_PAD src0_sel:DWORD src1_sel:WORD_1
	v_fma_f16 v3, v16, v3, v19
	v_mul_f16_sdwa v16, v66, v5 dst_sel:DWORD dst_unused:UNUSED_PAD src0_sel:DWORD src1_sel:WORD_1
	v_fma_f16 v42, v5, v66, -v42
	v_fma_f16 v5, v17, v5, v16
	v_sub_f16_e32 v33, v13, v33
	s_waitcnt lgkmcnt(1)
	v_sub_f16_e32 v4, v48, v4
	v_sub_f16_e32 v5, v3, v5
	;; [unrolled: 1-line block ×4, first 2 shown]
	v_fma_f16 v13, v13, 2.0, -v33
	v_fma_f16 v3, v3, 2.0, -v5
	v_add_f16_e32 v49, v33, v42
	v_fma_f16 v17, v4, 2.0, -v16
	v_sub_f16_e32 v19, v13, v3
	v_fma_f16 v3, v48, 2.0, -v4
	v_fma_f16 v4, v36, 2.0, -v42
	;; [unrolled: 1-line block ×3, first 2 shown]
	v_sub_f16_e32 v33, v3, v4
	v_fma_f16 v36, v3, 2.0, -v33
	v_mul_f16_sdwa v3, v45, v58 dst_sel:DWORD dst_unused:UNUSED_PAD src0_sel:WORD_1 src1_sel:DWORD
	v_fma_f16 v3, v14, v45, v3
	v_mul_f16_sdwa v4, v12, v44 dst_sel:DWORD dst_unused:UNUSED_PAD src0_sel:DWORD src1_sel:WORD_1
	v_mul_f16_sdwa v5, v15, v46 dst_sel:DWORD dst_unused:UNUSED_PAD src0_sel:DWORD src1_sel:WORD_1
	v_mul_f16_sdwa v14, v14, v45 dst_sel:DWORD dst_unused:UNUSED_PAD src0_sel:DWORD src1_sel:WORD_1
	v_fma_f16 v4, v44, v52, -v4
	v_fma_f16 v5, v46, v67, -v5
	;; [unrolled: 1-line block ×3, first 2 shown]
	v_mul_f16_sdwa v45, v52, v44 dst_sel:DWORD dst_unused:UNUSED_PAD src0_sel:DWORD src1_sel:WORD_1
	v_sub_f16_e32 v3, v11, v3
	v_sub_f16_e32 v5, v4, v5
	v_fma_f16 v12, v12, v44, v45
	v_mul_f16_sdwa v44, v67, v46 dst_sel:DWORD dst_unused:UNUSED_PAD src0_sel:DWORD src1_sel:WORD_1
	v_add_f16_e32 v39, v3, v5
	v_fma_f16 v15, v15, v46, v44
	v_fma_f16 v4, v4, 2.0, -v5
	v_lshrrev_b32_e32 v5, 5, v7
	v_sub_f16_e32 v15, v12, v15
	v_mul_hi_u32 v5, v5, s0
	v_fma_f16 v42, v3, 2.0, -v39
	s_waitcnt lgkmcnt(0)
	v_sub_f16_e32 v14, v0, v14
	v_fma_f16 v3, v11, 2.0, -v3
	v_fma_f16 v11, v12, 2.0, -v15
	v_sub_f16_e32 v44, v14, v15
	v_sub_f16_e32 v11, v3, v11
	v_fma_f16 v0, v0, 2.0, -v14
	v_fma_f16 v45, v14, 2.0, -v44
	v_sub_f16_e32 v12, v0, v4
	v_fma_f16 v14, v3, 2.0, -v11
	v_lshlrev_b64 v[3:4], 2, v[50:51]
	v_fma_f16 v15, v0, 2.0, -v12
	v_mul_u32_u24_e32 v0, 0x360, v5
	v_sub_u32_e32 v5, v7, v0
	v_mov_b32_e32 v0, s11
	v_add_co_u32_e32 v3, vcc, s10, v3
	v_addc_co_u32_e32 v4, vcc, v0, v4, vcc
	v_lshlrev_b64 v[0:1], 2, v[1:2]
	v_pack_b32_f16 v2, v14, v15
	v_add_co_u32_e32 v46, vcc, v3, v0
	v_addc_co_u32_e32 v4, vcc, v4, v1, vcc
	v_lshlrev_b32_e32 v0, 2, v5
	v_add_co_u32_e32 v0, vcc, v46, v0
	v_addc_co_u32_e32 v1, vcc, 0, v4, vcc
	global_store_dword v[0:1], v2, off
	v_pack_b32_f16 v2, v42, v45
	global_store_dword v[0:1], v2, off offset:3456
	v_add_co_u32_e32 v2, vcc, s1, v0
	v_pack_b32_f16 v5, v11, v12
	v_addc_co_u32_e32 v3, vcc, 0, v1, vcc
	global_store_dword v[2:3], v5, off offset:2816
	v_add_u32_e32 v3, 0x90, v7
	v_lshrrev_b32_e32 v5, 5, v3
	v_mul_hi_u32 v5, v5, s0
	s_movk_i32 s1, 0x2000
	v_add_co_u32_e32 v0, vcc, s1, v0
	v_pack_b32_f16 v2, v39, v44
	v_addc_co_u32_e32 v1, vcc, 0, v1, vcc
	global_store_dword v[0:1], v2, off offset:2176
	v_mul_u32_u24_e32 v0, 0x360, v5
	v_sub_u32_e32 v0, v3, v0
	v_mad_u32_u24 v5, v5, s4, v0
	v_lshlrev_b64 v[0:1], 2, v[5:6]
	v_fma_f16 v13, v13, 2.0, -v19
	v_add_co_u32_e32 v0, vcc, v46, v0
	v_addc_co_u32_e32 v1, vcc, v4, v1, vcc
	v_pack_b32_f16 v2, v13, v36
	global_store_dword v[0:1], v2, off
	v_add_u32_e32 v0, 0x360, v5
	v_mov_b32_e32 v1, v6
	v_lshlrev_b64 v[0:1], 2, v[0:1]
	v_pack_b32_f16 v2, v54, v17
	v_add_co_u32_e32 v0, vcc, v46, v0
	v_addc_co_u32_e32 v1, vcc, v4, v1, vcc
	global_store_dword v[0:1], v2, off
	v_add_u32_e32 v0, 0x6c0, v5
	v_mov_b32_e32 v1, v6
	v_lshlrev_b64 v[0:1], 2, v[0:1]
	v_pack_b32_f16 v2, v19, v33
	v_add_co_u32_e32 v0, vcc, v46, v0
	v_addc_co_u32_e32 v1, vcc, v4, v1, vcc
	global_store_dword v[0:1], v2, off
	v_add_u32_e32 v2, 0x120, v7
	v_add_u32_e32 v5, 0xa20, v5
	v_lshrrev_b32_e32 v3, 5, v2
	v_lshlrev_b64 v[0:1], 2, v[5:6]
	v_mul_hi_u32 v3, v3, s0
	v_add_co_u32_e32 v0, vcc, v46, v0
	v_addc_co_u32_e32 v1, vcc, v4, v1, vcc
	v_pack_b32_f16 v5, v49, v16
	global_store_dword v[0:1], v5, off
	v_mul_u32_u24_e32 v0, 0x360, v3
	v_sub_u32_e32 v0, v2, v0
	v_mad_u32_u24 v5, v3, s4, v0
	v_lshlrev_b64 v[0:1], 2, v[5:6]
	v_pack_b32_f16 v2, v18, v21
	v_add_co_u32_e32 v0, vcc, v46, v0
	v_addc_co_u32_e32 v1, vcc, v4, v1, vcc
	global_store_dword v[0:1], v2, off
	v_add_u32_e32 v0, 0x360, v5
	v_mov_b32_e32 v1, v6
	v_lshlrev_b64 v[0:1], 2, v[0:1]
	v_pack_b32_f16 v2, v59, v47
	v_add_co_u32_e32 v0, vcc, v46, v0
	v_addc_co_u32_e32 v1, vcc, v4, v1, vcc
	global_store_dword v[0:1], v2, off
	v_add_u32_e32 v0, 0x6c0, v5
	v_mov_b32_e32 v1, v6
	v_lshlrev_b64 v[0:1], 2, v[0:1]
	v_pack_b32_f16 v2, v20, v22
	v_add_co_u32_e32 v0, vcc, v46, v0
	v_addc_co_u32_e32 v1, vcc, v4, v1, vcc
	global_store_dword v[0:1], v2, off
	v_add_u32_e32 v2, 0x1b0, v7
	v_add_u32_e32 v5, 0xa20, v5
	v_lshrrev_b32_e32 v3, 5, v2
	v_lshlrev_b64 v[0:1], 2, v[5:6]
	v_mul_hi_u32 v3, v3, s0
	v_add_co_u32_e32 v0, vcc, v46, v0
	v_addc_co_u32_e32 v1, vcc, v4, v1, vcc
	v_pack_b32_f16 v5, v55, v30
	global_store_dword v[0:1], v5, off
	v_mul_u32_u24_e32 v0, 0x360, v3
	v_sub_u32_e32 v0, v2, v0
	v_mad_u32_u24 v5, v3, s4, v0
	v_lshlrev_b64 v[0:1], 2, v[5:6]
	v_pack_b32_f16 v2, v23, v25
	v_add_co_u32_e32 v0, vcc, v46, v0
	v_addc_co_u32_e32 v1, vcc, v4, v1, vcc
	global_store_dword v[0:1], v2, off
	v_add_u32_e32 v0, 0x360, v5
	v_mov_b32_e32 v1, v6
	v_lshlrev_b64 v[0:1], 2, v[0:1]
	v_pack_b32_f16 v2, v63, v43
	v_add_co_u32_e32 v0, vcc, v46, v0
	v_addc_co_u32_e32 v1, vcc, v4, v1, vcc
	global_store_dword v[0:1], v2, off
	v_add_u32_e32 v0, 0x6c0, v5
	v_mov_b32_e32 v1, v6
	v_lshlrev_b64 v[0:1], 2, v[0:1]
	v_pack_b32_f16 v2, v24, v26
	v_add_co_u32_e32 v0, vcc, v46, v0
	v_addc_co_u32_e32 v1, vcc, v4, v1, vcc
	global_store_dword v[0:1], v2, off
	v_add_u32_e32 v2, 0x240, v7
	v_add_u32_e32 v5, 0xa20, v5
	v_lshrrev_b32_e32 v3, 5, v2
	v_lshlrev_b64 v[0:1], 2, v[5:6]
	v_mul_hi_u32 v3, v3, s0
	v_add_co_u32_e32 v0, vcc, v46, v0
	v_addc_co_u32_e32 v1, vcc, v4, v1, vcc
	v_pack_b32_f16 v5, v60, v41
	global_store_dword v[0:1], v5, off
	v_mul_u32_u24_e32 v0, 0x360, v3
	v_sub_u32_e32 v0, v2, v0
	v_mad_u32_u24 v5, v3, s4, v0
	v_lshlrev_b64 v[0:1], 2, v[5:6]
	v_fma_f16 v8, v8, 2.0, -v29
	v_add_co_u32_e32 v0, vcc, v46, v0
	v_addc_co_u32_e32 v1, vcc, v4, v1, vcc
	v_pack_b32_f16 v2, v27, v8
	global_store_dword v[0:1], v2, off
	v_add_u32_e32 v0, 0x360, v5
	v_mov_b32_e32 v1, v6
	v_lshlrev_b64 v[0:1], 2, v[0:1]
	v_pack_b32_f16 v2, v68, v40
	v_add_co_u32_e32 v0, vcc, v46, v0
	v_addc_co_u32_e32 v1, vcc, v4, v1, vcc
	global_store_dword v[0:1], v2, off
	v_add_u32_e32 v0, 0x6c0, v5
	v_mov_b32_e32 v1, v6
	v_lshlrev_b64 v[0:1], 2, v[0:1]
	v_pack_b32_f16 v2, v28, v29
	v_add_co_u32_e32 v0, vcc, v46, v0
	v_addc_co_u32_e32 v1, vcc, v4, v1, vcc
	global_store_dword v[0:1], v2, off
	v_add_u32_e32 v2, 0x2d0, v7
	v_add_u32_e32 v5, 0xa20, v5
	v_lshrrev_b32_e32 v3, 5, v2
	v_lshlrev_b64 v[0:1], 2, v[5:6]
	v_mul_hi_u32 v3, v3, s0
	v_add_co_u32_e32 v0, vcc, v46, v0
	v_addc_co_u32_e32 v1, vcc, v4, v1, vcc
	v_pack_b32_f16 v5, v62, v38
	global_store_dword v[0:1], v5, off
	v_mul_u32_u24_e32 v0, 0x360, v3
	v_sub_u32_e32 v0, v2, v0
	v_mad_u32_u24 v5, v3, s4, v0
	v_lshlrev_b64 v[0:1], 2, v[5:6]
	v_sub_f16_e32 v32, v31, v32
	v_fma_f16 v31, v31, 2.0, -v32
	v_fma_f16 v10, v10, 2.0, -v53
	v_add_co_u32_e32 v0, vcc, v46, v0
	v_addc_co_u32_e32 v1, vcc, v4, v1, vcc
	v_pack_b32_f16 v2, v31, v10
	global_store_dword v[0:1], v2, off
	v_add_u32_e32 v0, 0x360, v5
	v_mov_b32_e32 v1, v6
	v_lshlrev_b64 v[0:1], 2, v[0:1]
	v_fma_f16 v9, v9, 2.0, -v35
	v_add_co_u32_e32 v0, vcc, v46, v0
	v_addc_co_u32_e32 v1, vcc, v4, v1, vcc
	v_pack_b32_f16 v2, v37, v9
	global_store_dword v[0:1], v2, off
	v_add_u32_e32 v0, 0x6c0, v5
	v_mov_b32_e32 v1, v6
	v_lshlrev_b64 v[0:1], 2, v[0:1]
	v_pack_b32_f16 v2, v32, v53
	v_add_co_u32_e32 v0, vcc, v46, v0
	v_addc_co_u32_e32 v1, vcc, v4, v1, vcc
	v_add_u32_e32 v5, 0xa20, v5
	global_store_dword v[0:1], v2, off
	v_lshlrev_b64 v[0:1], 2, v[5:6]
	v_pack_b32_f16 v2, v34, v35
	v_add_co_u32_e32 v0, vcc, v46, v0
	v_addc_co_u32_e32 v1, vcc, v4, v1, vcc
	global_store_dword v[0:1], v2, off
.LBB0_15:
	s_endpgm
	.section	.rodata,"a",@progbits
	.p2align	6, 0x0
	.amdhsa_kernel fft_rtc_back_len3456_factors_6_6_6_4_4_wgs_144_tpt_144_halfLds_half_op_CI_CI_unitstride_sbrr_dirReg
		.amdhsa_group_segment_fixed_size 0
		.amdhsa_private_segment_fixed_size 0
		.amdhsa_kernarg_size 104
		.amdhsa_user_sgpr_count 6
		.amdhsa_user_sgpr_private_segment_buffer 1
		.amdhsa_user_sgpr_dispatch_ptr 0
		.amdhsa_user_sgpr_queue_ptr 0
		.amdhsa_user_sgpr_kernarg_segment_ptr 1
		.amdhsa_user_sgpr_dispatch_id 0
		.amdhsa_user_sgpr_flat_scratch_init 0
		.amdhsa_user_sgpr_private_segment_size 0
		.amdhsa_uses_dynamic_stack 0
		.amdhsa_system_sgpr_private_segment_wavefront_offset 0
		.amdhsa_system_sgpr_workgroup_id_x 1
		.amdhsa_system_sgpr_workgroup_id_y 0
		.amdhsa_system_sgpr_workgroup_id_z 0
		.amdhsa_system_sgpr_workgroup_info 0
		.amdhsa_system_vgpr_workitem_id 0
		.amdhsa_next_free_vgpr 82
		.amdhsa_next_free_sgpr 28
		.amdhsa_reserve_vcc 1
		.amdhsa_reserve_flat_scratch 0
		.amdhsa_float_round_mode_32 0
		.amdhsa_float_round_mode_16_64 0
		.amdhsa_float_denorm_mode_32 3
		.amdhsa_float_denorm_mode_16_64 3
		.amdhsa_dx10_clamp 1
		.amdhsa_ieee_mode 1
		.amdhsa_fp16_overflow 0
		.amdhsa_exception_fp_ieee_invalid_op 0
		.amdhsa_exception_fp_denorm_src 0
		.amdhsa_exception_fp_ieee_div_zero 0
		.amdhsa_exception_fp_ieee_overflow 0
		.amdhsa_exception_fp_ieee_underflow 0
		.amdhsa_exception_fp_ieee_inexact 0
		.amdhsa_exception_int_div_zero 0
	.end_amdhsa_kernel
	.text
.Lfunc_end0:
	.size	fft_rtc_back_len3456_factors_6_6_6_4_4_wgs_144_tpt_144_halfLds_half_op_CI_CI_unitstride_sbrr_dirReg, .Lfunc_end0-fft_rtc_back_len3456_factors_6_6_6_4_4_wgs_144_tpt_144_halfLds_half_op_CI_CI_unitstride_sbrr_dirReg
                                        ; -- End function
	.section	.AMDGPU.csdata,"",@progbits
; Kernel info:
; codeLenInByte = 14256
; NumSgprs: 32
; NumVgprs: 82
; ScratchSize: 0
; MemoryBound: 0
; FloatMode: 240
; IeeeMode: 1
; LDSByteSize: 0 bytes/workgroup (compile time only)
; SGPRBlocks: 3
; VGPRBlocks: 20
; NumSGPRsForWavesPerEU: 32
; NumVGPRsForWavesPerEU: 82
; Occupancy: 3
; WaveLimiterHint : 1
; COMPUTE_PGM_RSRC2:SCRATCH_EN: 0
; COMPUTE_PGM_RSRC2:USER_SGPR: 6
; COMPUTE_PGM_RSRC2:TRAP_HANDLER: 0
; COMPUTE_PGM_RSRC2:TGID_X_EN: 1
; COMPUTE_PGM_RSRC2:TGID_Y_EN: 0
; COMPUTE_PGM_RSRC2:TGID_Z_EN: 0
; COMPUTE_PGM_RSRC2:TIDIG_COMP_CNT: 0
	.type	__hip_cuid_f03fbe6f96f6af68,@object ; @__hip_cuid_f03fbe6f96f6af68
	.section	.bss,"aw",@nobits
	.globl	__hip_cuid_f03fbe6f96f6af68
__hip_cuid_f03fbe6f96f6af68:
	.byte	0                               ; 0x0
	.size	__hip_cuid_f03fbe6f96f6af68, 1

	.ident	"AMD clang version 19.0.0git (https://github.com/RadeonOpenCompute/llvm-project roc-6.4.0 25133 c7fe45cf4b819c5991fe208aaa96edf142730f1d)"
	.section	".note.GNU-stack","",@progbits
	.addrsig
	.addrsig_sym __hip_cuid_f03fbe6f96f6af68
	.amdgpu_metadata
---
amdhsa.kernels:
  - .args:
      - .actual_access:  read_only
        .address_space:  global
        .offset:         0
        .size:           8
        .value_kind:     global_buffer
      - .offset:         8
        .size:           8
        .value_kind:     by_value
      - .actual_access:  read_only
        .address_space:  global
        .offset:         16
        .size:           8
        .value_kind:     global_buffer
      - .actual_access:  read_only
        .address_space:  global
        .offset:         24
        .size:           8
        .value_kind:     global_buffer
      - .actual_access:  read_only
        .address_space:  global
        .offset:         32
        .size:           8
        .value_kind:     global_buffer
      - .offset:         40
        .size:           8
        .value_kind:     by_value
      - .actual_access:  read_only
        .address_space:  global
        .offset:         48
        .size:           8
        .value_kind:     global_buffer
      - .actual_access:  read_only
        .address_space:  global
        .offset:         56
        .size:           8
        .value_kind:     global_buffer
      - .offset:         64
        .size:           4
        .value_kind:     by_value
      - .actual_access:  read_only
        .address_space:  global
        .offset:         72
        .size:           8
        .value_kind:     global_buffer
      - .actual_access:  read_only
        .address_space:  global
        .offset:         80
        .size:           8
        .value_kind:     global_buffer
      - .actual_access:  read_only
        .address_space:  global
        .offset:         88
        .size:           8
        .value_kind:     global_buffer
      - .actual_access:  write_only
        .address_space:  global
        .offset:         96
        .size:           8
        .value_kind:     global_buffer
    .group_segment_fixed_size: 0
    .kernarg_segment_align: 8
    .kernarg_segment_size: 104
    .language:       OpenCL C
    .language_version:
      - 2
      - 0
    .max_flat_workgroup_size: 144
    .name:           fft_rtc_back_len3456_factors_6_6_6_4_4_wgs_144_tpt_144_halfLds_half_op_CI_CI_unitstride_sbrr_dirReg
    .private_segment_fixed_size: 0
    .sgpr_count:     32
    .sgpr_spill_count: 0
    .symbol:         fft_rtc_back_len3456_factors_6_6_6_4_4_wgs_144_tpt_144_halfLds_half_op_CI_CI_unitstride_sbrr_dirReg.kd
    .uniform_work_group_size: 1
    .uses_dynamic_stack: false
    .vgpr_count:     82
    .vgpr_spill_count: 0
    .wavefront_size: 64
amdhsa.target:   amdgcn-amd-amdhsa--gfx906
amdhsa.version:
  - 1
  - 2
...

	.end_amdgpu_metadata
